;; amdgpu-corpus repo=ROCm/aiter kind=harvested arch=n/a opt=n/a

/root/src/amdgpu-assembly/repos/ROCm__aiter/hsa/gfx942/fmoe/silu/fmoe_bf16_blockscaleFp8_g1u1_silu_1tg_ps_32x256.co:	file format elf64-amdgpu

Disassembly of section .text:

0000000000002e00 <_ZN5aiter47fmoe_bf16_blockscaleFp8_g1u1_silu_1tg_ps_32x256E>:
	v_lshrrev_b32_e32 v1, 10, v0                               // 000000002E00: 2002008A
	v_lshrrev_b32_e32 v2, 10, v1                               // 000000002E04: 2004028A
	v_and_b32_e32 v2, 0x3ff, v2                                // 000000002E08: 260404FF 000003FF
	v_and_b32_e32 v1, 0x3ff, v1                                // 000000002E10: 260202FF 000003FF
	v_and_b32_e32 v0, 0x3ff, v0                                // 000000002E18: 260000FF 000003FF
	v_lshrrev_b32_e32 v3, 6, v0                                // 000000002E20: 20060086
	v_and_b32_e32 v0, 63, v0                                   // 000000002E24: 260000BF
	s_mov_b32 s2, s2                                           // 000000002E28: BE820002
	s_mov_b32 s3, s3                                           // 000000002E2C: BE830003
	s_mov_b32 s4, s4                                           // 000000002E30: BE840004
	s_mov_b32 s99, s2                                          // 000000002E34: BEE30002
	v_readfirstlane_b32 s7, v3                                 // 000000002E38: 7E0E0503
	s_and_b32 s1, s1, 0xffff                                   // 000000002E3C: 8601FF01 0000FFFF
	s_mov_b32 s96, 0                                           // 000000002E44: BEE00080
	s_mov_b32 s97, 0                                           // 000000002E48: BEE10080
	s_mov_b32 s100, 0                                          // 000000002E4C: BEE40080
	s_load_dword s96, s[0:1], 0x1a0                            // 000000002E50: C0021800 000001A0
	s_load_dword s97, s[0:1], 0x1b0                            // 000000002E58: C0021840 000001B0
	s_waitcnt lgkmcnt(0)                                       // 000000002E60: BF8CC07F
	s_cmp_eq_u32 s96, 0                                        // 000000002E64: BF068060
	s_cbranch_scc1 label_005C                                  // 000000002E68: BF850041
	v_cvt_f32_u32_e32 v56, s97                                 // 000000002E6C: 7E700C61
	s_sub_i32 s60, 0, s97                                      // 000000002E70: 81BC6180
	v_rcp_iflag_f32_e32 v56, v56                               // 000000002E74: 7E704738
	s_nop 0                                                    // 000000002E78: BF800000
	v_mul_f32_e32 v56, 0x4f7ffffe, v56                         // 000000002E7C: 0A7070FF 4F7FFFFE
	v_cvt_u32_f32_e32 v56, v56                                 // 000000002E84: 7E700F38
	v_mul_lo_u32 v57, s60, v56                                 // 000000002E88: D2850039 0002703C
	v_mul_hi_u32 v57, v56, v57                                 // 000000002E90: D2860039 00027338
	v_add_u32_e32 v56, v56, v57                                // 000000002E98: 68707338
	v_mul_hi_u32 v56, s96, v56                                 // 000000002E9C: D2860038 00027060
	v_mul_lo_u32 v57, v56, s97                                 // 000000002EA4: D2850039 0000C338
	v_sub_u32_e32 v59, s96, v57                                // 000000002EAC: 6A767260
	v_add_u32_e32 v58, 1, v56                                  // 000000002EB0: 68747081
	v_cmp_le_u32_e32 vcc, s97, v59                             // 000000002EB4: 7D967661
	v_subrev_u32_e32 v57, s97, v59                             // 000000002EB8: 6C727661
	s_nop 0                                                    // 000000002EBC: BF800000
	v_cndmask_b32_e32 v56, v56, v58, vcc                       // 000000002EC0: 00707538
	v_cndmask_b32_e32 v59, v59, v57, vcc                       // 000000002EC4: 0076733B
	v_add_u32_e32 v57, 1, v56                                  // 000000002EC8: 68727081
	v_cmp_le_u32_e32 vcc, s97, v59                             // 000000002ECC: 7D967661
	s_nop 1                                                    // 000000002ED0: BF800001
	v_cndmask_b32_e32 v59, v56, v57, vcc                       // 000000002ED4: 00767338
	s_nop 3                                                    // 000000002ED8: BF800003
	v_readfirstlane_b32 s98, v59                               // 000000002EDC: 7EC4053B
	s_nop 3                                                    // 000000002EE0: BF800003

0000000000002ee4 <label_0039>:
	s_mov_b32 s4, 1                                            // 000000002EE4: BE840081
	v_cvt_f32_u32_e32 v56, s97                                 // 000000002EE8: 7E700C61
	s_sub_i32 s60, 0, s97                                      // 000000002EEC: 81BC6180
	v_rcp_iflag_f32_e32 v56, v56                               // 000000002EF0: 7E704738
	s_nop 0                                                    // 000000002EF4: BF800000
	v_mul_f32_e32 v56, 0x4f7ffffe, v56                         // 000000002EF8: 0A7070FF 4F7FFFFE
	v_cvt_u32_f32_e32 v56, v56                                 // 000000002F00: 7E700F38
	v_mul_lo_u32 v57, s60, v56                                 // 000000002F04: D2850039 0002703C
	v_mul_hi_u32 v57, v56, v57                                 // 000000002F0C: D2860039 00027338
	v_add_u32_e32 v56, v56, v57                                // 000000002F14: 68707338
	v_mul_hi_u32 v56, s99, v56                                 // 000000002F18: D2860038 00027063
	v_mul_lo_u32 v57, v56, s97                                 // 000000002F20: D2850039 0000C338
	v_sub_u32_e32 v59, s99, v57                                // 000000002F28: 6A767263
	v_add_u32_e32 v58, 1, v56                                  // 000000002F2C: 68747081
	v_cmp_le_u32_e32 vcc, s97, v59                             // 000000002F30: 7D967661
	v_subrev_u32_e32 v57, s97, v59                             // 000000002F34: 6C727661
	s_nop 0                                                    // 000000002F38: BF800000
	v_cndmask_b32_e32 v56, v56, v58, vcc                       // 000000002F3C: 00707538
	v_cndmask_b32_e32 v59, v59, v57, vcc                       // 000000002F40: 0076733B
	v_add_u32_e32 v57, 1, v56                                  // 000000002F44: 68727081
	v_cmp_le_u32_e32 vcc, s97, v59                             // 000000002F48: 7D967661
	s_nop 1                                                    // 000000002F4C: BF800001
	v_cndmask_b32_e32 v59, v56, v57, vcc                       // 000000002F50: 00767338
	s_nop 3                                                    // 000000002F54: BF800003
	v_readfirstlane_b32 s3, v59                                // 000000002F58: 7E06053B
	s_nop 3                                                    // 000000002F5C: BF800003
	s_mul_i32 s60, s3, s97                                     // 000000002F60: 923C6103
	s_sub_u32 s2, s99, s60                                     // 000000002F64: 80823C63
	s_mul_i32 s60, s98, s100                                   // 000000002F68: 923C6462
	s_add_i32 s3, s3, s60                                      // 000000002F6C: 81033C03

0000000000002f70 <label_005C>:
	s_and_b32 s1, s1, 0xffff                                   // 000000002F70: 8601FF01 0000FFFF
	s_load_dwordx2 s[8:9], s[0:1], 0x0                         // 000000002F78: C0060200 00000000
	s_load_dwordx2 s[20:21], s[0:1], 0x10                      // 000000002F80: C0060500 00000010
	s_load_dwordx2 s[24:25], s[0:1], 0x20                      // 000000002F88: C0060600 00000020
	s_load_dwordx2 s[50:51], s[0:1], 0x30                      // 000000002F90: C0060C80 00000030
	s_load_dwordx2 s[12:13], s[0:1], 0x40                      // 000000002F98: C0060300 00000040
	s_load_dwordx2 s[28:29], s[0:1], 0x50                      // 000000002FA0: C0060700 00000050
	s_load_dwordx2 s[32:33], s[0:1], 0x60                      // 000000002FA8: C0060800 00000060
	s_load_dwordx2 s[16:17], s[0:1], 0x70                      // 000000002FB0: C0060400 00000070
	s_load_dwordx2 s[36:37], s[0:1], 0x80                      // 000000002FB8: C0060900 00000080
	s_load_dwordx2 s[44:45], s[0:1], 0x90                      // 000000002FC0: C0060B00 00000090
	s_load_dwordx2 s[40:41], s[0:1], 0xa0                      // 000000002FC8: C0060A00 000000A0
	s_load_dwordx2 s[46:47], s[0:1], 0xb0                      // 000000002FD0: C0060B80 000000B0
	s_load_dword s64, s[0:1], 0xc0                             // 000000002FD8: C0021000 000000C0
	s_load_dword s65, s[0:1], 0xd0                             // 000000002FE0: C0021040 000000D0
	s_load_dword s67, s[0:1], 0xf0                             // 000000002FE8: C00210C0 000000F0
	s_load_dword s68, s[0:1], 0x100                            // 000000002FF0: C0021100 00000100
	s_load_dword s69, s[0:1], 0x110                            // 000000002FF8: C0021140 00000110
	s_load_dword s70, s[0:1], 0x120                            // 000000003000: C0021180 00000120
	s_load_dword s71, s[0:1], 0x130                            // 000000003008: C00211C0 00000130
	s_load_dword s72, s[0:1], 0x140                            // 000000003010: C0021200 00000140
	s_load_dword s73, s[0:1], 0x150                            // 000000003018: C0021240 00000150
	s_load_dword s74, s[0:1], 0x160                            // 000000003020: C0021280 00000160
	s_load_dword s75, s[0:1], 0x170                            // 000000003028: C00212C0 00000170
	s_load_dword s76, s[0:1], 0x180                            // 000000003030: C0021300 00000180
	s_mov_b32 s2, s2                                           // 000000003038: BE820002
	s_mov_b32 s3, s3                                           // 00000000303C: BE830003
	s_mov_b32 s4, s4                                           // 000000003040: BE840004
	s_waitcnt lgkmcnt(0)                                       // 000000003044: BF8CC07F
	s_and_b32 s51, s51, 0xffff                                 // 000000003048: 8633FF33 0000FFFF
	s_load_dword s66, s[50:51], 0x4                            // 000000003050: C0021099 00000004
	s_load_dword s50, s[50:51], 0x0                            // 000000003058: C0020C99 00000000
	s_waitcnt lgkmcnt(0)                                       // 000000003060: BF8CC07F
	s_and_b32 s45, s45, 0xffff                                 // 000000003064: 862DFF2D 0000FFFF
	s_and_b32 s47, s47, 0xffff                                 // 00000000306C: 862FFF2F 0000FFFF
	s_and_b32 s9, s9, 0xffff                                   // 000000003074: 8609FF09 0000FFFF
	s_mul_i32 s60, s66, s68                                    // 00000000307C: 923C4442
	s_mul_i32 s61, s66, 4                                      // 000000003080: 923D8442
	s_mov_b32 s22, s60                                         // 000000003084: BE96003C
	s_mov_b32 s26, -16                                         // 000000003088: BE9A00D0
	s_mov_b32 s14, -16                                         // 00000000308C: BE8E00D0
	s_mov_b32 s42, -16                                         // 000000003090: BEAA00D0
	s_mov_b32 s30, -16                                         // 000000003094: BE9E00D0
	s_mov_b32 s34, -16                                         // 000000003098: BEA200D0
	s_mov_b32 s38, -16                                         // 00000000309C: BEA600D0
	s_mov_b32 s18, -16                                         // 0000000030A0: BE9200D0
	s_mov_b32 s23, 0x20000                                     // 0000000030A4: BE9700FF 00020000
	s_mov_b32 s27, 0x20000                                     // 0000000030AC: BE9B00FF 00020000
	s_mov_b32 s15, 0x20000                                     // 0000000030B4: BE8F00FF 00020000
	s_mov_b32 s43, 0x20000                                     // 0000000030BC: BEAB00FF 00020000
	s_mov_b32 s31, 0x20000                                     // 0000000030C4: BE9F00FF 00020000
	s_mov_b32 s35, 0x20000                                     // 0000000030CC: BEA300FF 00020000
	s_mov_b32 s39, 0x20000                                     // 0000000030D4: BEA700FF 00020000
	s_mov_b32 s19, 0x20000                                     // 0000000030DC: BE9300FF 00020000
	s_and_b32 s21, s21, 0xffff                                 // 0000000030E4: 8615FF15 0000FFFF
	s_and_b32 s25, s25, 0xffff                                 // 0000000030EC: 8619FF19 0000FFFF
	s_and_b32 s13, s13, 0xffff                                 // 0000000030F4: 860DFF0D 0000FFFF
	s_and_b32 s41, s41, 0xffff                                 // 0000000030FC: 8629FF29 0000FFFF
	s_and_b32 s29, s29, 0xffff                                 // 000000003104: 861DFF1D 0000FFFF
	s_and_b32 s33, s33, 0xffff                                 // 00000000310C: 8621FF21 0000FFFF
	s_and_b32 s37, s37, 0xffff                                 // 000000003114: 8625FF25 0000FFFF
	s_and_b32 s17, s17, 0xffff                                 // 00000000311C: 8611FF11 0000FFFF
	s_or_b32 s21, s21, 0x40000                                 // 000000003124: 8715FF15 00040000
	s_or_b32 s25, s25, 0x40000                                 // 00000000312C: 8719FF19 00040000
	s_or_b32 s13, s13, 0x40000                                 // 000000003134: 870DFF0D 00040000
	s_or_b32 s41, s41, 0x40000                                 // 00000000313C: 8729FF29 00040000
	s_or_b32 s29, s29, 0x40000                                 // 000000003144: 871DFF1D 00040000
	s_or_b32 s33, s33, 0x40000                                 // 00000000314C: 8721FF21 00040000
	s_or_b32 s37, s37, 0x40000                                 // 000000003154: 8725FF25 00040000
	s_or_b32 s17, s17, 0x40000                                 // 00000000315C: 8711FF11 00040000
	v_accvgpr_write_b32 a127, 0                                // 000000003164: D3D9407F 18000080
	v_mov_b32_e32 v255, 0                                      // 00000000316C: 7FFE0280
	s_waitcnt lgkmcnt(0)                                       // 000000003170: BF8CC07F
	s_mul_i32 s60, s3, 32                                      // 000000003174: 923CA003
	s_cmp_lt_i32 s60, s50                                      // 000000003178: BF04323C
	s_cbranch_scc0 label_1D9F                                  // 00000000317C: BF841CBF
	s_mov_b32 s80, 0                                           // 000000003180: BED00080
	s_mov_b32 s81, s64                                         // 000000003184: BED10040
	s_mul_i32 s60, s3, 4                                       // 000000003188: 923C8403
	s_add_u32 s46, s60, s46                                    // 00000000318C: 802E2E3C
	s_addc_u32 s47, 0, s47                                     // 000000003190: 822F2F80
	s_load_dword s5, s[46:47], 0x0                             // 000000003194: C0020157 00000000
	s_mul_i32 s60, s3, 32                                      // 00000000319C: 923CA003
	s_mul_i32 s60, 4, s60                                      // 0000000031A0: 923C3C84
	v_and_b32_e32 v56, 15, v0                                  // 0000000031A4: 2670008F
	v_lshlrev_b32_e32 v56, 2, v56                              // 0000000031A8: 24707082
	v_add_u32_e32 v56, s60, v56                                // 0000000031AC: 6870703C
	v_mov_b32_e32 v57, 0                                       // 0000000031B0: 7E720280
	global_load_dword v7, v56, s[44:45]                        // 0000000031B4: DC508000 072C0038
	v_add_u32_e32 v56, 64, v56                                 // 0000000031BC: 687070C0
	global_load_dword v8, v56, s[44:45]                        // 0000000031C0: DC508000 082C0038
	s_mul_i32 s60, s3, 32                                      // 0000000031C8: 923CA003
	s_add_u32 s60, s7, s60                                     // 0000000031CC: 803C3C07
	s_mul_i32 s60, 4, s60                                      // 0000000031D0: 923C3C84
	s_add_u32 s44, s60, s44                                    // 0000000031D4: 802C2C3C
	s_addc_u32 s45, 0, s45                                     // 0000000031D8: 822D2D80
	s_load_dword s82, s[44:45], 0x0                            // 0000000031DC: C0021496 00000000
	s_load_dword s83, s[44:45], 0x10                           // 0000000031E4: C00214D6 00000010
	s_load_dword s84, s[44:45], 0x20                           // 0000000031EC: C0021516 00000020
	s_load_dword s85, s[44:45], 0x30                           // 0000000031F4: C0021556 00000030
	s_load_dword s86, s[44:45], 0x40                           // 0000000031FC: C0021596 00000040
	s_load_dword s87, s[44:45], 0x50                           // 000000003204: C00215D6 00000050
	s_load_dword s88, s[44:45], 0x60                           // 00000000320C: C0021616 00000060
	s_load_dword s89, s[44:45], 0x70                           // 000000003214: C0021656 00000070
	s_waitcnt lgkmcnt(0)                                       // 00000000321C: BF8CC07F
	v_lshlrev_b32_e32 v56, 2, v0                               // 000000003220: 24700082
	s_and_b32 s82, s82, 0xffffff                               // 000000003224: 8652FF52 00FFFFFF
	s_mul_i32 s60, s82, s68                                    // 00000000322C: 923C4452
	v_add_u32_e64 v36, v56, s60                                // 000000003230: D1340024 00007938
	s_and_b32 s83, s83, 0xffffff                               // 000000003238: 8653FF53 00FFFFFF
	s_mul_i32 s60, s83, s68                                    // 000000003240: 923C4453
	v_add_u32_e64 v37, v56, s60                                // 000000003244: D1340025 00007938
	s_and_b32 s84, s84, 0xffffff                               // 00000000324C: 8654FF54 00FFFFFF
	s_mul_i32 s60, s84, s68                                    // 000000003254: 923C4454
	v_add_u32_e64 v38, v56, s60                                // 000000003258: D1340026 00007938
	s_and_b32 s85, s85, 0xffffff                               // 000000003260: 8655FF55 00FFFFFF
	s_mul_i32 s60, s85, s68                                    // 000000003268: 923C4455
	v_add_u32_e64 v39, v56, s60                                // 00000000326C: D1340027 00007938
	s_and_b32 s86, s86, 0xffffff                               // 000000003274: 8656FF56 00FFFFFF
	s_mul_i32 s60, s86, s68                                    // 00000000327C: 923C4456
	v_add_u32_e64 v40, v56, s60                                // 000000003280: D1340028 00007938
	s_and_b32 s87, s87, 0xffffff                               // 000000003288: 8657FF57 00FFFFFF
	s_mul_i32 s60, s87, s68                                    // 000000003290: 923C4457
	v_add_u32_e64 v41, v56, s60                                // 000000003294: D1340029 00007938
	s_and_b32 s88, s88, 0xffffff                               // 00000000329C: 8658FF58 00FFFFFF
	s_mul_i32 s60, s88, s68                                    // 0000000032A4: 923C4458
	v_add_u32_e64 v42, v56, s60                                // 0000000032A8: D134002A 00007938
	s_and_b32 s89, s89, 0xffffff                               // 0000000032B0: 8659FF59 00FFFFFF
	s_mul_i32 s60, s89, s68                                    // 0000000032B8: 923C4459
	v_add_u32_e64 v43, v56, s60                                // 0000000032BC: D134002B 00007938
	v_lshlrev_b32_e32 v56, 2, v0                               // 0000000032C4: 24700082
	s_mul_i32 s60, s82, s71                                    // 0000000032C8: 923C4752
	v_add_u32_e64 v80, v56, s60                                // 0000000032CC: D1340050 00007938
	v_mov_b32_e32 v81, 0                                       // 0000000032D4: 7EA20280
	s_mul_i32 s60, s83, s71                                    // 0000000032D8: 923C4753
	v_add_u32_e64 v82, v56, s60                                // 0000000032DC: D1340052 00007938
	v_mov_b32_e32 v83, 0                                       // 0000000032E4: 7EA60280
	s_mul_i32 s60, s84, s71                                    // 0000000032E8: 923C4754
	v_add_u32_e64 v84, v56, s60                                // 0000000032EC: D1340054 00007938
	v_mov_b32_e32 v85, 0                                       // 0000000032F4: 7EAA0280
	s_mul_i32 s60, s85, s71                                    // 0000000032F8: 923C4755
	v_add_u32_e64 v86, v56, s60                                // 0000000032FC: D1340056 00007938
	v_mov_b32_e32 v87, 0                                       // 000000003304: 7EAE0280
	s_mul_i32 s60, s86, s71                                    // 000000003308: 923C4756
	v_add_u32_e64 v88, v56, s60                                // 00000000330C: D1340058 00007938
	v_mov_b32_e32 v89, 0                                       // 000000003314: 7EB20280
	s_mul_i32 s60, s87, s71                                    // 000000003318: 923C4757
	v_add_u32_e64 v90, v56, s60                                // 00000000331C: D134005A 00007938
	v_mov_b32_e32 v91, 0                                       // 000000003324: 7EB60280
	s_mul_i32 s60, s88, s71                                    // 000000003328: 923C4758
	v_add_u32_e64 v92, v56, s60                                // 00000000332C: D134005C 00007938
	v_mov_b32_e32 v93, 0                                       // 000000003334: 7EBA0280
	s_mul_i32 s60, s89, s71                                    // 000000003338: 923C4759
	v_add_u32_e64 v94, v56, s60                                // 00000000333C: D134005E 00007938
	v_mov_b32_e32 v95, 0                                       // 000000003344: 7EBE0280
	s_mul_i32 s60, s7, 0x820                                   // 000000003348: 923CFF07 00000820
	s_add_u32 s50, 0, s60                                      // 000000003350: 80323C80
	s_add_u32 s51, 0x2480, s50                                 // 000000003354: 803332FF 00002480
	v_lshrrev_b32_e32 v56, 4, v0                               // 00000000335C: 20700084
	v_lshlrev_b32_e32 v57, 2, v56                              // 000000003360: 24727082
	v_and_b32_e32 v56, 15, v0                                  // 000000003364: 2670008F
	v_lshrrev_b32_e32 v58, 2, v56                              // 000000003368: 20747082
	v_lshlrev_b32_e32 v58, 6, v58                              // 00000000336C: 24747486
	v_add_u32_e32 v57, v58, v57                                // 000000003370: 6872733A
	v_and_b32_e32 v56, 3, v0                                   // 000000003374: 26700083
	v_mul_i32_i24_e32 v58, 0x208, v56                          // 000000003378: 0C7470FF 00000208
	v_add_u32_e32 v57, v58, v57                                // 000000003380: 6872733A
	v_lshlrev_b32_e32 v2, 2, v57                               // 000000003384: 24047282
	s_mul_i32 s60, s2, 0x100                                   // 000000003388: 923CFF02 00000100
	s_mul_i32 s60, s60, s69                                    // 000000003390: 923C453C
	s_mul_i32 s61, s5, s72                                     // 000000003394: 923D4805
	s_add_u32 s60, s61, s60                                    // 000000003398: 803C3C3D
	s_add_u32 s24, s60, s24                                    // 00000000339C: 8018183C
	s_addc_u32 s25, 0, s25                                     // 0000000033A0: 82191980
	s_mul_i32 s60, s7, 16                                      // 0000000033A4: 923C9007
	s_mul_i32 s60, s60, s69                                    // 0000000033A8: 923C453C
	v_lshlrev_b32_e32 v44, 4, v0                               // 0000000033AC: 24580084
	v_add_u32_e32 v44, s60, v44                                // 0000000033B0: 6858583C
	s_mul_i32 s60, 64, s69                                     // 0000000033B4: 923C45C0
	v_add_u32_e32 v45, s60, v44                                // 0000000033B8: 685A583C
	v_add_u32_e32 v46, s60, v45                                // 0000000033BC: 685C5A3C
	v_add_u32_e32 v47, s60, v46                                // 0000000033C0: 685E5C3C
	s_mov_b32 s92, s24                                         // 0000000033C4: BEDC0018
	s_mov_b32 s93, s25                                         // 0000000033C8: BEDD0019
	s_mov_b32 s94, s26                                         // 0000000033CC: BEDE001A
	s_mov_b32 s95, s27                                         // 0000000033D0: BEDF001B
	s_mul_i32 s60, s69, s65                                    // 0000000033D4: 923C4145
	s_add_u32 s92, s60, s92                                    // 0000000033D8: 805C5C3C
	s_addc_u32 s93, 0, s93                                     // 0000000033DC: 825D5D80
	s_mul_i32 s60, s2, 0x1000                                  // 0000000033E0: 923CFF02 00001000
	s_mul_i32 s61, s5, s73                                     // 0000000033E8: 923D4905
	s_add_u32 s60, s61, s60                                    // 0000000033EC: 803C3C3D
	s_add_u32 s12, s60, s12                                    // 0000000033F0: 800C0C3C
	s_addc_u32 s13, 0, s13                                     // 0000000033F4: 820D0D80
	s_mul_i32 s60, s7, 16                                      // 0000000033F8: 923C9007
	s_mul_i32 s60, s60, s70                                    // 0000000033FC: 923C463C
	v_lshlrev_b32_e32 v48, 4, v0                               // 000000003400: 24600084
	v_add_u32_e32 v48, s60, v48                                // 000000003404: 6860603C
	s_mul_i32 s60, 64, s70                                     // 000000003408: 923C46C0
	v_add_u32_e32 v49, s60, v48                                // 00000000340C: 6862603C
	v_add_u32_e32 v50, s60, v49                                // 000000003410: 6864623C
	v_add_u32_e32 v51, s60, v50                                // 000000003414: 6866643C
	s_mul_i32 s60, s70, 0x100                                  // 000000003418: 923CFF46 00000100
	s_mov_b32 s78, 0x400                                       // 000000003420: BECE00FF 00000400
	s_mul_i32 s61, s78, 3                                      // 000000003428: 923D834E
	s_sub_u32 s56, s60, s61                                    // 00000000342C: 80B83D3C
	s_mul_i32 s60, s3, 32                                      // 000000003430: 923CA003
	s_mul_i32 s60, 4, s60                                      // 000000003434: 923C3C84
	s_add_u32 s40, s60, s40                                    // 000000003438: 8028283C
	s_addc_u32 s41, 0, s41                                     // 00000000343C: 82292980
	v_and_b32_e32 v56, 15, v0                                  // 000000003440: 2670008F
	v_lshlrev_b32_e32 v9, 2, v56                               // 000000003444: 24127082
	v_add_u32_e32 v10, 64, v9                                  // 000000003448: 681412C0
	s_lshr_b32 s60, s64, 7                                     // 00000000344C: 8F3C8740
	s_mul_i32 s61, s60, 4                                      // 000000003450: 923D843C
	v_and_b32_e64 v11, v0, 1                                   // 000000003454: D113000B 00010300
	v_mul_i32_i24_e64 v11, v11, s61                            // 00000000345C: D106000B 00007B0B
	v_and_b32_e64 v56, v0, 3                                   // 000000003464: D1130038 00010700
	v_lshrrev_b32_e32 v56, 1, v56                              // 00000000346C: 20707081
	v_mul_i32_i24_e32 v56, 4, v56                              // 000000003470: 0C707084
	v_add_u32_e32 v11, v11, v56                                // 000000003474: 6816710B
	s_lshr_b32 s60, s65, 7                                     // 000000003478: 8F3C8741
	s_mul_i32 s60, s60, s61                                    // 00000000347C: 923C3D3C
	v_add_u32_e64 v13, v11, s60                                // 000000003480: D134000D 0000790B
	s_mov_b32 s4, 8                                            // 000000003488: BE840088
	s_mul_i32 s60, s2, 2                                       // 00000000348C: 923C8202
	s_mul_i32 s60, s60, s61                                    // 000000003490: 923C3D3C
	s_mul_i32 s61, s5, s74                                     // 000000003494: 923D4A05
	s_add_u32 s61, s61, s60                                    // 000000003498: 803D3C3D
	s_add_u32 s32, s61, s32                                    // 00000000349C: 8020203D
	s_addc_u32 s33, 0, s33                                     // 0000000034A0: 82212180
	s_lshr_b32 s60, s65, 7                                     // 0000000034A4: 8F3C8741
	s_mul_i32 s61, s60, 4                                      // 0000000034A8: 923D843C
	s_mul_i32 s60, s2, 2                                       // 0000000034AC: 923C8202
	s_mul_i32 s60, s60, 4                                      // 0000000034B0: 923C843C
	v_and_b32_e64 v6, v0, 1                                    // 0000000034B4: D1130006 00010300
	v_mul_i32_i24_e64 v6, v6, s61                              // 0000000034BC: D1060006 00007B06
	v_and_b32_e64 v56, v0, 3                                   // 0000000034C4: D1130038 00010700
	v_lshrrev_b32_e32 v56, 1, v56                              // 0000000034CC: 20707081
	v_mul_i32_i24_e32 v56, 4, v56                              // 0000000034D0: 0C707084
	v_add_i32 v6, v6, v56                                      // 0000000034D4: D29C0006 00027106
	v_add_i32 v6, v6, s60                                      // 0000000034DC: D29C0006 00007906
	s_mul_i32 s60, s5, s75                                     // 0000000034E4: 923C4B05
	s_add_u32 s16, s60, s16                                    // 0000000034E8: 8010103C
	s_addc_u32 s17, 0, s17                                     // 0000000034EC: 82111180
	s_mov_b32 s57, 0x100                                       // 0000000034F0: BEB900FF 00000100
	s_mov_b32 s58, 0x1000                                      // 0000000034F8: BEBA00FF 00001000
	s_mul_i32 s79, 2, s61                                      // 000000003500: 924F3D82
	s_mov_b32 s59, 0                                           // 000000003504: BEBB0080
	s_mov_b32 s90, s58                                         // 000000003508: BEDA003A
	s_mov_b32 s52, 0x7060302                                   // 00000000350C: BEB400FF 07060302
	s_mov_b32 s53, 0x400                                       // 000000003514: BEB500FF 00000400
	s_mov_b32 s54, 0x40100                                     // 00000000351C: BEB600FF 00040100
	s_mov_b32 s55, 0x4020100                                   // 000000003524: BEB700FF 04020100
	s_mov_b32 s6, 0x3fb8aa3b                                   // 00000000352C: BE8600FF 3FB8AA3B
	s_mov_b32 s77, 0xbd92220c                                  // 000000003534: BECD00FF BD92220C
	s_mov_b32 m0, s50                                          // 00000000353C: BEFC0032
	v_mov_b32_e32 v1, 0xbfcc4231                               // 000000003540: 7E0202FF BFCC4231
	v_mov_b32_e32 v53, 0xffff0000                              // 000000003548: 7E6A02FF FFFF0000
	v_mov_b32_e32 v54, 0x7fff0000                              // 000000003550: 7E6C02FF 7FFF0000
	v_mov_b32_e32 v55, 0x7fff                                  // 000000003558: 7E6E02FF 00007FFF
	s_waitcnt vmcnt(0) expcnt(0) lgkmcnt(0)                    // 000000003560: BF8C0000
	v_and_b32_e32 v7, 0xffffff, v7                             // 000000003564: 260E0EFF 00FFFFFF
	v_and_b32_e32 v8, 0xffffff, v8                             // 00000000356C: 261010FF 00FFFFFF
	v_lshlrev_b32_e32 v7, 2, v7                                // 000000003574: 240E0E82
	v_lshlrev_b32_e32 v8, 2, v8                                // 000000003578: 24101082
	s_lshr_b32 s60, s7, 1                                      // 00000000357C: 8F3C8107
	s_lshl_b32 s3, s66, 2                                      // 000000003580: 8E038242
	s_mul_i32 s60, s60, s3                                     // 000000003584: 923C033C
	s_add_u32 s28, s28, s60                                    // 000000003588: 801C3C1C
	s_addc_u32 s29, 0, s29                                     // 00000000358C: 821D1D80
	s_mov_b32 s30, s3                                          // 000000003590: BE9E0003
	s_lshl_b32 s3, s3, 1                                       // 000000003594: 8E038103
	s_and_b32 s61, s7, 1                                       // 000000003598: 863D8107
	s_cmp_eq_u32 s61, 1                                        // 00000000359C: BF06813D
	s_cselect_b32 s60, 0, 1                                    // 0000000035A0: 853C8180
	v_mul_i32_i24_e64 v56, v7, s60                             // 0000000035A4: D1060038 00007907
	v_mul_i32_i24_e64 v57, v8, s61                             // 0000000035AC: D1060039 00007B08
	v_add_u32_e32 v56, v56, v57                                // 0000000035B4: 68707338
	v_mov_b32_e32 v7, v56                                      // 0000000035B8: 7E0E0338
	s_mul_i32 s60, s7, 0x100                                   // 0000000035BC: 923CFF07 00000100
	s_sub_u32 s61, 4, s7                                       // 0000000035C4: 80BD0784
	s_mul_i32 s61, s61, 0x820                                  // 0000000035C8: 923DFF3D 00000820
	s_add_u32 s76, s60, s61                                    // 0000000035D0: 804C3D3C
	v_lshlrev_b32_e32 v3, 2, v0                                // 0000000035D4: 24060082
	buffer_load_dword v23, v11, s[32:35], 0 offen              // 0000000035D8: E0501000 8008170B
	buffer_load_dword v25, v9, s[40:43], 0 offen               // 0000000035E0: E0501000 800A1909
	buffer_load_dword v26, v10, s[40:43], 0 offen              // 0000000035E8: E0501000 800A1A0A
	buffer_load_dword v36, s[20:23], 0 offen lds               // 0000000035F0: E0511000 80050024
	s_add_u32 m0, 0x100, s50                                   // 0000000035F8: 807C32FF 00000100
	buffer_load_dword v37, s[20:23], 0 offen lds               // 000000003600: E0511000 80050025
	s_add_u32 m0, 0x200, s50                                   // 000000003608: 807C32FF 00000200
	buffer_load_dword v38, s[20:23], 0 offen lds               // 000000003610: E0511000 80050026
	s_add_u32 m0, 0x300, s50                                   // 000000003618: 807C32FF 00000300
	;; [unrolled: 2-line block ×5, first 2 shown]
	buffer_load_dword v42, s[20:23], 0 offen lds               // 000000003650: E0511000 8005002A
	s_add_u32 m0, 0x700, s50                                   // 000000003658: 807C32FF 00000700
	buffer_load_dword v43, s[20:23], 0 offen lds               // 000000003660: E0511000 8005002B
	s_add_u32 m0, s50, s76                                     // 000000003668: 807C4C32
	buffer_load_dword v7, s[28:31], 0 offen lds                // 00000000366C: E0511000 80070007
	s_add_u32 m0, 0, s51                                       // 000000003674: 807C3380
	s_add_u32 s20, s57, s20                                    // 000000003678: 80141439
	s_addc_u32 s21, 0, s21                                     // 00000000367C: 82151580
	s_add_u32 s28, s3, s28                                     // 000000003680: 801C1C03
	s_addc_u32 s29, 0, s29                                     // 000000003684: 821D1D80
	buffer_load_dwordx4 a[0:3], v44, s[24:27], 0 offen         // 000000003688: E05C1000 8086002C
	buffer_load_dwordx4 a[4:7], v44, s[24:27], 0 offen offset:1024// 000000003690: E05C1400 8086042C
	buffer_load_dwordx4 a[16:19], v45, s[24:27], 0 offen       // 000000003698: E05C1000 8086102D
	buffer_load_dwordx4 a[20:23], v45, s[24:27], 0 offen offset:1024// 0000000036A0: E05C1400 8086142D
	buffer_load_dwordx4 a[32:35], v46, s[24:27], 0 offen       // 0000000036A8: E05C1000 8086202E
	buffer_load_dwordx4 a[36:39], v46, s[24:27], 0 offen offset:1024// 0000000036B0: E05C1400 8086242E
	buffer_load_dwordx4 a[48:51], v47, s[24:27], 0 offen       // 0000000036B8: E05C1000 8086302F
	buffer_load_dwordx4 a[52:55], v47, s[24:27], 0 offen offset:1024// 0000000036C0: E05C1400 8086342F
	buffer_load_dwordx4 a[8:11], v44, s[24:27], 0 offen offset:2048// 0000000036C8: E05C1800 8086082C
	buffer_load_dwordx4 a[12:15], v44, s[24:27], 0 offen offset:3072// 0000000036D0: E05C1C00 80860C2C
	buffer_load_dwordx4 a[24:27], v45, s[24:27], 0 offen offset:2048// 0000000036D8: E05C1800 8086182D
	buffer_load_dwordx4 a[28:31], v45, s[24:27], 0 offen offset:3072// 0000000036E0: E05C1C00 80861C2D
	buffer_load_dwordx4 a[40:43], v46, s[24:27], 0 offen offset:2048// 0000000036E8: E05C1800 8086282E
	buffer_load_dwordx4 a[44:47], v46, s[24:27], 0 offen offset:3072// 0000000036F0: E05C1C00 80862C2E
	buffer_load_dwordx4 a[56:59], v47, s[24:27], 0 offen offset:2048// 0000000036F8: E05C1800 8086382F
	buffer_load_dwordx4 a[60:63], v47, s[24:27], 0 offen offset:3072// 000000003700: E05C1C00 80863C2F
	s_add_u32 s24, s58, s24                                    // 000000003708: 8018183A
	s_addc_u32 s25, 0, s25                                     // 00000000370C: 82191980
	v_mov_b32_e32 v128, 0                                      // 000000003710: 7F000280
	v_mov_b32_e32 v64, 0                                       // 000000003714: 7E800280
	v_mov_b32_e32 v129, 0                                      // 000000003718: 7F020280
	v_mov_b32_e32 v65, 0                                       // 00000000371C: 7E820280
	v_mov_b32_e32 v130, 0                                      // 000000003720: 7F040280
	v_mov_b32_e32 v66, 0                                       // 000000003724: 7E840280
	v_mov_b32_e32 v131, 0                                      // 000000003728: 7F060280
	v_mov_b32_e32 v67, 0                                       // 00000000372C: 7E860280
	v_mov_b32_e32 v132, 0                                      // 000000003730: 7F080280
	v_mov_b32_e32 v68, 0                                       // 000000003734: 7E880280
	v_mov_b32_e32 v133, 0                                      // 000000003738: 7F0A0280
	v_mov_b32_e32 v69, 0                                       // 00000000373C: 7E8A0280
	v_mov_b32_e32 v134, 0                                      // 000000003740: 7F0C0280
	v_mov_b32_e32 v70, 0                                       // 000000003744: 7E8C0280
	v_mov_b32_e32 v135, 0                                      // 000000003748: 7F0E0280
	v_mov_b32_e32 v71, 0                                       // 00000000374C: 7E8E0280
	v_mov_b32_e32 v136, 0                                      // 000000003750: 7F100280
	v_mov_b32_e32 v72, 0                                       // 000000003754: 7E900280
	v_mov_b32_e32 v137, 0                                      // 000000003758: 7F120280
	v_mov_b32_e32 v73, 0                                       // 00000000375C: 7E920280
	v_mov_b32_e32 v138, 0                                      // 000000003760: 7F140280
	v_mov_b32_e32 v74, 0                                       // 000000003764: 7E940280
	v_mov_b32_e32 v139, 0                                      // 000000003768: 7F160280
	v_mov_b32_e32 v75, 0                                       // 00000000376C: 7E960280
	v_mov_b32_e32 v140, 0                                      // 000000003770: 7F180280
	v_mov_b32_e32 v76, 0                                       // 000000003774: 7E980280
	v_mov_b32_e32 v141, 0                                      // 000000003778: 7F1A0280
	v_mov_b32_e32 v77, 0                                       // 00000000377C: 7E9A0280
	v_mov_b32_e32 v142, 0                                      // 000000003780: 7F1C0280
	v_mov_b32_e32 v78, 0                                       // 000000003784: 7E9C0280
	v_mov_b32_e32 v143, 0                                      // 000000003788: 7F1E0280
	v_mov_b32_e32 v79, 0                                       // 00000000378C: 7E9E0280
	v_mov_b32_e32 v144, 0                                      // 000000003790: 7F200280
	v_mov_b32_e32 v80, 0                                       // 000000003794: 7EA00280
	v_mov_b32_e32 v145, 0                                      // 000000003798: 7F220280
	v_mov_b32_e32 v81, 0                                       // 00000000379C: 7EA20280
	v_mov_b32_e32 v146, 0                                      // 0000000037A0: 7F240280
	v_mov_b32_e32 v82, 0                                       // 0000000037A4: 7EA40280
	v_mov_b32_e32 v147, 0                                      // 0000000037A8: 7F260280
	v_mov_b32_e32 v83, 0                                       // 0000000037AC: 7EA60280
	v_mov_b32_e32 v148, 0                                      // 0000000037B0: 7F280280
	v_mov_b32_e32 v84, 0                                       // 0000000037B4: 7EA80280
	v_mov_b32_e32 v149, 0                                      // 0000000037B8: 7F2A0280
	v_mov_b32_e32 v85, 0                                       // 0000000037BC: 7EAA0280
	v_mov_b32_e32 v150, 0                                      // 0000000037C0: 7F2C0280
	v_mov_b32_e32 v86, 0                                       // 0000000037C4: 7EAC0280
	v_mov_b32_e32 v151, 0                                      // 0000000037C8: 7F2E0280
	v_mov_b32_e32 v87, 0                                       // 0000000037CC: 7EAE0280
	v_mov_b32_e32 v152, 0                                      // 0000000037D0: 7F300280
	v_mov_b32_e32 v88, 0                                       // 0000000037D4: 7EB00280
	v_mov_b32_e32 v153, 0                                      // 0000000037D8: 7F320280
	v_mov_b32_e32 v89, 0                                       // 0000000037DC: 7EB20280
	v_mov_b32_e32 v154, 0                                      // 0000000037E0: 7F340280
	v_mov_b32_e32 v90, 0                                       // 0000000037E4: 7EB40280
	v_mov_b32_e32 v155, 0                                      // 0000000037E8: 7F360280
	v_mov_b32_e32 v91, 0                                       // 0000000037EC: 7EB60280
	v_mov_b32_e32 v156, 0                                      // 0000000037F0: 7F380280
	v_mov_b32_e32 v92, 0                                       // 0000000037F4: 7EB80280
	v_mov_b32_e32 v157, 0                                      // 0000000037F8: 7F3A0280
	v_mov_b32_e32 v93, 0                                       // 0000000037FC: 7EBA0280
	v_mov_b32_e32 v158, 0                                      // 000000003800: 7F3C0280
	v_mov_b32_e32 v94, 0                                       // 000000003804: 7EBC0280
	v_mov_b32_e32 v159, 0                                      // 000000003808: 7F3E0280
	v_mov_b32_e32 v95, 0                                       // 00000000380C: 7EBE0280
	v_mov_b32_e32 v160, 0                                      // 000000003810: 7F400280
	v_mov_b32_e32 v96, 0                                       // 000000003814: 7EC00280
	v_mov_b32_e32 v161, 0                                      // 000000003818: 7F420280
	v_mov_b32_e32 v97, 0                                       // 00000000381C: 7EC20280
	v_mov_b32_e32 v162, 0                                      // 000000003820: 7F440280
	v_mov_b32_e32 v98, 0                                       // 000000003824: 7EC40280
	v_mov_b32_e32 v163, 0                                      // 000000003828: 7F460280
	v_mov_b32_e32 v99, 0                                       // 00000000382C: 7EC60280
	v_mov_b32_e32 v164, 0                                      // 000000003830: 7F480280
	v_mov_b32_e32 v100, 0                                      // 000000003834: 7EC80280
	v_mov_b32_e32 v165, 0                                      // 000000003838: 7F4A0280
	v_mov_b32_e32 v101, 0                                      // 00000000383C: 7ECA0280
	v_mov_b32_e32 v166, 0                                      // 000000003840: 7F4C0280
	v_mov_b32_e32 v102, 0                                      // 000000003844: 7ECC0280
	v_mov_b32_e32 v167, 0                                      // 000000003848: 7F4E0280
	v_mov_b32_e32 v103, 0                                      // 00000000384C: 7ECE0280
	v_mov_b32_e32 v168, 0                                      // 000000003850: 7F500280
	v_mov_b32_e32 v104, 0                                      // 000000003854: 7ED00280
	v_mov_b32_e32 v169, 0                                      // 000000003858: 7F520280
	v_mov_b32_e32 v105, 0                                      // 00000000385C: 7ED20280
	v_mov_b32_e32 v170, 0                                      // 000000003860: 7F540280
	v_mov_b32_e32 v106, 0                                      // 000000003864: 7ED40280
	v_mov_b32_e32 v171, 0                                      // 000000003868: 7F560280
	v_mov_b32_e32 v107, 0                                      // 00000000386C: 7ED60280
	v_mov_b32_e32 v172, 0                                      // 000000003870: 7F580280
	v_mov_b32_e32 v108, 0                                      // 000000003874: 7ED80280
	v_mov_b32_e32 v173, 0                                      // 000000003878: 7F5A0280
	v_mov_b32_e32 v109, 0                                      // 00000000387C: 7EDA0280
	v_mov_b32_e32 v174, 0                                      // 000000003880: 7F5C0280
	v_mov_b32_e32 v110, 0                                      // 000000003884: 7EDC0280
	v_mov_b32_e32 v175, 0                                      // 000000003888: 7F5E0280
	v_mov_b32_e32 v111, 0                                      // 00000000388C: 7EDE0280
	v_mov_b32_e32 v176, 0                                      // 000000003890: 7F600280
	v_mov_b32_e32 v112, 0                                      // 000000003894: 7EE00280
	v_mov_b32_e32 v177, 0                                      // 000000003898: 7F620280
	v_mov_b32_e32 v113, 0                                      // 00000000389C: 7EE20280
	v_mov_b32_e32 v178, 0                                      // 0000000038A0: 7F640280
	v_mov_b32_e32 v114, 0                                      // 0000000038A4: 7EE40280
	v_mov_b32_e32 v179, 0                                      // 0000000038A8: 7F660280
	v_mov_b32_e32 v115, 0                                      // 0000000038AC: 7EE60280
	v_mov_b32_e32 v180, 0                                      // 0000000038B0: 7F680280
	v_mov_b32_e32 v116, 0                                      // 0000000038B4: 7EE80280
	v_mov_b32_e32 v181, 0                                      // 0000000038B8: 7F6A0280
	v_mov_b32_e32 v117, 0                                      // 0000000038BC: 7EEA0280
	v_mov_b32_e32 v182, 0                                      // 0000000038C0: 7F6C0280
	v_mov_b32_e32 v118, 0                                      // 0000000038C4: 7EEC0280
	v_mov_b32_e32 v183, 0                                      // 0000000038C8: 7F6E0280
	v_mov_b32_e32 v119, 0                                      // 0000000038CC: 7EEE0280
	v_mov_b32_e32 v184, 0                                      // 0000000038D0: 7F700280
	v_mov_b32_e32 v120, 0                                      // 0000000038D4: 7EF00280
	v_mov_b32_e32 v185, 0                                      // 0000000038D8: 7F720280
	v_mov_b32_e32 v121, 0                                      // 0000000038DC: 7EF20280
	v_mov_b32_e32 v186, 0                                      // 0000000038E0: 7F740280
	v_mov_b32_e32 v122, 0                                      // 0000000038E4: 7EF40280
	v_mov_b32_e32 v187, 0                                      // 0000000038E8: 7F760280
	v_mov_b32_e32 v123, 0                                      // 0000000038EC: 7EF60280
	v_mov_b32_e32 v188, 0                                      // 0000000038F0: 7F780280
	v_mov_b32_e32 v124, 0                                      // 0000000038F4: 7EF80280
	v_mov_b32_e32 v189, 0                                      // 0000000038F8: 7F7A0280
	v_mov_b32_e32 v125, 0                                      // 0000000038FC: 7EFA0280
	v_mov_b32_e32 v190, 0                                      // 000000003900: 7F7C0280
	v_mov_b32_e32 v126, 0                                      // 000000003904: 7EFC0280
	v_mov_b32_e32 v191, 0                                      // 000000003908: 7F7E0280
	v_mov_b32_e32 v127, 0                                      // 00000000390C: 7EFE0280
	v_lshrrev_b32_e32 v56, 4, v0                               // 000000003910: 20700084
	v_mul_i32_i24_e32 v4, 34, v56                              // 000000003914: 0C0870A2
	v_and_b32_e32 v56, 15, v0                                  // 000000003918: 2670008F
	v_mul_i32_i24_e32 v57, 2, v56                              // 00000000391C: 0C727082
	v_add_u32_e32 v4, v57, v4                                  // 000000003920: 68080939
	s_mul_i32 s60, s7, 0x88                                    // 000000003924: 923CFF07 00000088
	v_add_u32_e32 v4, s60, v4                                  // 00000000392C: 6808083C
	v_lshlrev_b32_e32 v4, 2, v4                                // 000000003930: 24080882
	v_lshrrev_b32_e32 v56, 1, v0                               // 000000003934: 20700081
	v_mul_i32_i24_e32 v5, 34, v56                              // 000000003938: 0C0A70A2
	v_and_b32_e32 v57, 1, v0                                   // 00000000393C: 26720081
	v_add_u32_e32 v5, v57, v5                                  // 000000003940: 680A0B39
	s_mul_i32 s60, s7, 2                                       // 000000003944: 923C8207
	v_add_u32_e32 v5, s60, v5                                  // 000000003948: 680A0A3C
	v_lshlrev_b32_e32 v5, 2, v5                                // 00000000394C: 240A0A82
	s_waitcnt vmcnt(16)                                        // 000000003950: BF8C4F70
	s_barrier                                                  // 000000003954: BF8A0000
	ds_read_b128 v[192:195], v2                                // 000000003958: D9FE0000 C0000002
	ds_read_b128 v[196:199], v2 offset:64                      // 000000003960: D9FE0040 C4000002
	ds_read_b128 v[200:203], v2 offset:128                     // 000000003968: D9FE0080 C8000002
	ds_read_b128 v[204:207], v2 offset:192                     // 000000003970: D9FE00C0 CC000002
	ds_read_b128 v[208:211], v2 offset:1024                    // 000000003978: D9FE0400 D0000002
	ds_read_b128 v[212:215], v2 offset:1088                    // 000000003980: D9FE0440 D4000002
	ds_read_b128 v[216:219], v2 offset:1152                    // 000000003988: D9FE0480 D8000002
	ds_read_b128 v[220:223], v2 offset:1216                    // 000000003990: D9FE04C0 DC000002
	ds_read_b32 v15, v3 offset:8320                            // 000000003998: D86C2080 0F000003
	ds_read_b32 v16, v3 offset:8576                            // 0000000039A0: D86C2180 10000003
	ds_read_b32 v17, v3 offset:8832                            // 0000000039A8: D86C2280 11000003
	ds_read_b32 v18, v3 offset:9088                            // 0000000039B0: D86C2380 12000003
	s_cmp_lt_i32 s7, 2                                         // 0000000039B8: BF048207
	s_cbranch_scc0 label_0F9E                                  // 0000000039BC: BF840CAE

00000000000039c0 <label_02F0>:
	s_waitcnt vmcnt(8) lgkmcnt(0)                              // 0000000039C0: BF8C0078
	s_barrier                                                  // 0000000039C4: BF8A0000
	v_mfma_f32_16x16x32_fp8_fp8 v[160:163], a[0:1], v[192:193], 0// 0000000039C8: D3F300A0 0A038100
	v_mfma_f32_16x16x32_fp8_fp8 v[160:163], a[2:3], v[194:195], v[160:163]// 0000000039D0: D3F300A0 0E838502
	buffer_load_dwordx4 a[64:67], v44, s[92:95], 0 offen       // 0000000039D8: E05C1000 8097402C
	v_mfma_f32_16x16x32_fp8_fp8 v[160:163], a[4:5], v[196:197], v[160:163]// 0000000039E0: D3F300A0 0E838904
	v_mfma_f32_16x16x32_fp8_fp8 v[160:163], a[6:7], v[198:199], v[160:163]// 0000000039E8: D3F300A0 0E838D06
	buffer_load_dword v36, s[20:23], 0 offen lds               // 0000000039F0: E0511000 80050024
	s_add_u32 m0, 0x100, s51                                   // 0000000039F8: 807C33FF 00000100
	v_mfma_f32_16x16x32_fp8_fp8 v[164:167], a[0:1], v[208:209], 0// 000000003A00: D3F300A4 0A03A100
	v_mfma_f32_16x16x32_fp8_fp8 v[164:167], a[2:3], v[210:211], v[164:167]// 000000003A08: D3F300A4 0E93A502
	buffer_load_dwordx4 a[68:71], v44, s[92:95], 0 offen offset:1024// 000000003A10: E05C1400 8097442C
	v_mfma_f32_16x16x32_fp8_fp8 v[164:167], a[4:5], v[212:213], v[164:167]// 000000003A18: D3F300A4 0E93A904
	v_mfma_f32_16x16x32_fp8_fp8 v[164:167], a[6:7], v[214:215], v[164:167]// 000000003A20: D3F300A4 0E93AD06
	buffer_load_dword v37, s[20:23], 0 offen lds               // 000000003A28: E0511000 80050025
	s_add_u32 m0, 0x200, s51                                   // 000000003A30: 807C33FF 00000200
	v_mfma_f32_16x16x32_fp8_fp8 v[168:171], a[16:17], v[192:193], 0// 000000003A38: D3F300A8 0A038110
	v_mfma_f32_16x16x32_fp8_fp8 v[168:171], a[18:19], v[194:195], v[168:171]// 000000003A40: D3F300A8 0EA38512
	buffer_load_dwordx4 a[80:83], v45, s[92:95], 0 offen       // 000000003A48: E05C1000 8097502D
	v_mfma_f32_16x16x32_fp8_fp8 v[168:171], a[20:21], v[196:197], v[168:171]// 000000003A50: D3F300A8 0EA38914
	v_mfma_f32_16x16x32_fp8_fp8 v[168:171], a[22:23], v[198:199], v[168:171]// 000000003A58: D3F300A8 0EA38D16
	buffer_load_dword v38, s[20:23], 0 offen lds               // 000000003A60: E0511000 80050026
	s_add_u32 m0, 0x300, s51                                   // 000000003A68: 807C33FF 00000300
	v_mfma_f32_16x16x32_fp8_fp8 v[172:175], a[16:17], v[208:209], 0// 000000003A70: D3F300AC 0A03A110
	v_mfma_f32_16x16x32_fp8_fp8 v[172:175], a[18:19], v[210:211], v[172:175]// 000000003A78: D3F300AC 0EB3A512
	buffer_load_dwordx4 a[84:87], v45, s[92:95], 0 offen offset:1024// 000000003A80: E05C1400 8097542D
	v_mfma_f32_16x16x32_fp8_fp8 v[172:175], a[20:21], v[212:213], v[172:175]// 000000003A88: D3F300AC 0EB3A914
	v_mfma_f32_16x16x32_fp8_fp8 v[172:175], a[22:23], v[214:215], v[172:175]// 000000003A90: D3F300AC 0EB3AD16
	buffer_load_dword v39, s[20:23], 0 offen lds               // 000000003A98: E0511000 80050027
	s_add_u32 m0, 0x400, s51                                   // 000000003AA0: 807C33FF 00000400
	v_mfma_f32_16x16x32_fp8_fp8 v[176:179], a[32:33], v[192:193], 0// 000000003AA8: D3F300B0 0A038120
	v_mfma_f32_16x16x32_fp8_fp8 v[176:179], a[34:35], v[194:195], v[176:179]// 000000003AB0: D3F300B0 0EC38522
	buffer_load_dwordx4 a[96:99], v46, s[92:95], 0 offen       // 000000003AB8: E05C1000 8097602E
	v_mfma_f32_16x16x32_fp8_fp8 v[176:179], a[36:37], v[196:197], v[176:179]// 000000003AC0: D3F300B0 0EC38924
	v_mfma_f32_16x16x32_fp8_fp8 v[176:179], a[38:39], v[198:199], v[176:179]// 000000003AC8: D3F300B0 0EC38D26
	buffer_load_dword v40, s[20:23], 0 offen lds               // 000000003AD0: E0511000 80050028
	s_add_u32 m0, 0x500, s51                                   // 000000003AD8: 807C33FF 00000500
	v_mfma_f32_16x16x32_fp8_fp8 v[180:183], a[32:33], v[208:209], 0// 000000003AE0: D3F300B4 0A03A120
	v_mfma_f32_16x16x32_fp8_fp8 v[180:183], a[34:35], v[210:211], v[180:183]// 000000003AE8: D3F300B4 0ED3A522
	buffer_load_dwordx4 a[100:103], v46, s[92:95], 0 offen offset:1024// 000000003AF0: E05C1400 8097642E
	v_mfma_f32_16x16x32_fp8_fp8 v[180:183], a[36:37], v[212:213], v[180:183]// 000000003AF8: D3F300B4 0ED3A924
	v_mfma_f32_16x16x32_fp8_fp8 v[180:183], a[38:39], v[214:215], v[180:183]// 000000003B00: D3F300B4 0ED3AD26
	buffer_load_dword v41, s[20:23], 0 offen lds               // 000000003B08: E0511000 80050029
	s_add_u32 m0, 0x600, s51                                   // 000000003B10: 807C33FF 00000600
	v_mfma_f32_16x16x32_fp8_fp8 v[184:187], a[48:49], v[192:193], 0// 000000003B18: D3F300B8 0A038130
	v_mfma_f32_16x16x32_fp8_fp8 v[184:187], a[50:51], v[194:195], v[184:187]// 000000003B20: D3F300B8 0EE38532
	buffer_load_dwordx4 a[112:115], v47, s[92:95], 0 offen     // 000000003B28: E05C1000 8097702F
	v_mfma_f32_16x16x32_fp8_fp8 v[184:187], a[52:53], v[196:197], v[184:187]// 000000003B30: D3F300B8 0EE38934
	v_mfma_f32_16x16x32_fp8_fp8 v[184:187], a[54:55], v[198:199], v[184:187]// 000000003B38: D3F300B8 0EE38D36
	buffer_load_dword v42, s[20:23], 0 offen lds               // 000000003B40: E0511000 8005002A
	s_add_u32 m0, 0x700, s51                                   // 000000003B48: 807C33FF 00000700
	v_mfma_f32_16x16x32_fp8_fp8 v[188:191], a[48:49], v[208:209], 0// 000000003B50: D3F300BC 0A03A130
	v_mfma_f32_16x16x32_fp8_fp8 v[188:191], a[50:51], v[210:211], v[188:191]// 000000003B58: D3F300BC 0EF3A532
	buffer_load_dwordx4 a[116:119], v47, s[92:95], 0 offen offset:1024// 000000003B60: E05C1400 8097742F
	v_mfma_f32_16x16x32_fp8_fp8 v[188:191], a[52:53], v[212:213], v[188:191]// 000000003B68: D3F300BC 0EF3A934
	v_mfma_f32_16x16x32_fp8_fp8 v[188:191], a[54:55], v[214:215], v[188:191]// 000000003B70: D3F300BC 0EF3AD36
	buffer_load_dword v43, s[20:23], 0 offen lds               // 000000003B78: E0511000 8005002B
	s_add_u32 m0, s51, s76                                     // 000000003B80: 807C4C33
	buffer_load_dword v7, s[28:31], 0 offen lds                // 000000003B84: E0511000 80070007
	s_add_u32 m0, 0, s50                                       // 000000003B8C: 807C3280
	buffer_load_dword v24, v13, s[32:35], 0 offen              // 000000003B90: E0501000 8008180D
	v_mul_f32_dpp v56, v23, v15 row_newbcast:0 row_mask:0xf bank_mask:0xf// 000000003B98: 0A701EFA FF015017
	v_mov_b32_e32 v57, v56                                     // 000000003BA0: 7E720338
	v_pk_fma_f32 v[128:129], v[160:161], v[56:57], v[128:129]  // 000000003BA4: D3B04080 1E0271A0
	v_pk_fma_f32 v[130:131], v[162:163], v[56:57], v[130:131]  // 000000003BAC: D3B04082 1E0A71A2
	v_pk_fma_f32 v[136:137], v[168:169], v[56:57], v[136:137]  // 000000003BB4: D3B04088 1E2271A8
	v_pk_fma_f32 v[138:139], v[170:171], v[56:57], v[138:139]  // 000000003BBC: D3B0408A 1E2A71AA
	v_mul_f32_dpp v56, v23, v15 row_newbcast:1 row_mask:0xf bank_mask:0xf// 000000003BC4: 0A701EFA FF015117
	v_mov_b32_e32 v57, v56                                     // 000000003BCC: 7E720338
	v_pk_fma_f32 v[144:145], v[176:177], v[56:57], v[144:145]  // 000000003BD0: D3B04090 1E4271B0
	v_pk_fma_f32 v[146:147], v[178:179], v[56:57], v[146:147]  // 000000003BD8: D3B04092 1E4A71B2
	v_pk_fma_f32 v[152:153], v[184:185], v[56:57], v[152:153]  // 000000003BE0: D3B04098 1E6271B8
	v_pk_fma_f32 v[154:155], v[186:187], v[56:57], v[154:155]  // 000000003BE8: D3B0409A 1E6A71BA
	v_mul_f32_dpp v56, v23, v16 row_newbcast:0 row_mask:0xf bank_mask:0xf// 000000003BF0: 0A7020FA FF015017
	v_mov_b32_e32 v57, v56                                     // 000000003BF8: 7E720338
	v_pk_fma_f32 v[132:133], v[164:165], v[56:57], v[132:133]  // 000000003BFC: D3B04084 1E1271A4
	v_pk_fma_f32 v[134:135], v[166:167], v[56:57], v[134:135]  // 000000003C04: D3B04086 1E1A71A6
	v_pk_fma_f32 v[140:141], v[172:173], v[56:57], v[140:141]  // 000000003C0C: D3B0408C 1E3271AC
	v_pk_fma_f32 v[142:143], v[174:175], v[56:57], v[142:143]  // 000000003C14: D3B0408E 1E3A71AE
	v_mul_f32_dpp v56, v23, v16 row_newbcast:1 row_mask:0xf bank_mask:0xf// 000000003C1C: 0A7020FA FF015117
	v_mov_b32_e32 v57, v56                                     // 000000003C24: 7E720338
	v_pk_fma_f32 v[148:149], v[180:181], v[56:57], v[148:149]  // 000000003C28: D3B04094 1E5271B4
	v_pk_fma_f32 v[150:151], v[182:183], v[56:57], v[150:151]  // 000000003C30: D3B04096 1E5A71B6
	v_pk_fma_f32 v[156:157], v[188:189], v[56:57], v[156:157]  // 000000003C38: D3B0409C 1E7271BC
	v_pk_fma_f32 v[158:159], v[190:191], v[56:57], v[158:159]  // 000000003C40: D3B0409E 1E7A71BE
	s_waitcnt vmcnt(22)                                        // 000000003C48: BF8C4F76
	v_mfma_f32_16x16x32_fp8_fp8 v[160:163], a[8:9], v[200:201], 0// 000000003C4C: D3F300A0 0A039108
	v_mfma_f32_16x16x32_fp8_fp8 v[160:163], a[10:11], v[202:203], v[160:163]// 000000003C54: D3F300A0 0E83950A
	buffer_load_dwordx4 a[72:75], v44, s[92:95], 0 offen offset:2048// 000000003C5C: E05C1800 8097482C
	v_mfma_f32_16x16x32_fp8_fp8 v[160:163], a[12:13], v[204:205], v[160:163]// 000000003C64: D3F300A0 0E83990C
	v_mfma_f32_16x16x32_fp8_fp8 v[160:163], a[14:15], v[206:207], v[160:163]// 000000003C6C: D3F300A0 0E839D0E
	v_mfma_f32_16x16x32_fp8_fp8 v[164:167], a[8:9], v[216:217], 0// 000000003C74: D3F300A4 0A03B108
	v_mfma_f32_16x16x32_fp8_fp8 v[164:167], a[10:11], v[218:219], v[164:167]// 000000003C7C: D3F300A4 0E93B50A
	buffer_load_dwordx4 a[76:79], v44, s[92:95], 0 offen offset:3072// 000000003C84: E05C1C00 80974C2C
	v_mfma_f32_16x16x32_fp8_fp8 v[164:167], a[12:13], v[220:221], v[164:167]// 000000003C8C: D3F300A4 0E93B90C
	v_mfma_f32_16x16x32_fp8_fp8 v[164:167], a[14:15], v[222:223], v[164:167]// 000000003C94: D3F300A4 0E93BD0E
	v_mfma_f32_16x16x32_fp8_fp8 v[168:171], a[24:25], v[200:201], 0// 000000003C9C: D3F300A8 0A039118
	v_mfma_f32_16x16x32_fp8_fp8 v[168:171], a[26:27], v[202:203], v[168:171]// 000000003CA4: D3F300A8 0EA3951A
	buffer_load_dwordx4 a[88:91], v45, s[92:95], 0 offen offset:2048// 000000003CAC: E05C1800 8097582D
	v_mfma_f32_16x16x32_fp8_fp8 v[168:171], a[28:29], v[204:205], v[168:171]// 000000003CB4: D3F300A8 0EA3991C
	v_mfma_f32_16x16x32_fp8_fp8 v[168:171], a[30:31], v[206:207], v[168:171]// 000000003CBC: D3F300A8 0EA39D1E
	v_mfma_f32_16x16x32_fp8_fp8 v[172:175], a[24:25], v[216:217], 0// 000000003CC4: D3F300AC 0A03B118
	v_mfma_f32_16x16x32_fp8_fp8 v[172:175], a[26:27], v[218:219], v[172:175]// 000000003CCC: D3F300AC 0EB3B51A
	buffer_load_dwordx4 a[92:95], v45, s[92:95], 0 offen offset:3072// 000000003CD4: E05C1C00 80975C2D
	v_mfma_f32_16x16x32_fp8_fp8 v[172:175], a[28:29], v[220:221], v[172:175]// 000000003CDC: D3F300AC 0EB3B91C
	v_mfma_f32_16x16x32_fp8_fp8 v[172:175], a[30:31], v[222:223], v[172:175]// 000000003CE4: D3F300AC 0EB3BD1E
	s_waitcnt vmcnt(22)                                        // 000000003CEC: BF8C4F76
	v_mfma_f32_16x16x32_fp8_fp8 v[176:179], a[40:41], v[200:201], 0// 000000003CF0: D3F300B0 0A039128
	v_mfma_f32_16x16x32_fp8_fp8 v[176:179], a[42:43], v[202:203], v[176:179]// 000000003CF8: D3F300B0 0EC3952A
	buffer_load_dwordx4 a[104:107], v46, s[92:95], 0 offen offset:2048// 000000003D00: E05C1800 8097682E
	v_mfma_f32_16x16x32_fp8_fp8 v[176:179], a[44:45], v[204:205], v[176:179]// 000000003D08: D3F300B0 0EC3992C
	v_mfma_f32_16x16x32_fp8_fp8 v[176:179], a[46:47], v[206:207], v[176:179]// 000000003D10: D3F300B0 0EC39D2E
	v_mfma_f32_16x16x32_fp8_fp8 v[180:183], a[40:41], v[216:217], 0// 000000003D18: D3F300B4 0A03B128
	v_mfma_f32_16x16x32_fp8_fp8 v[180:183], a[42:43], v[218:219], v[180:183]// 000000003D20: D3F300B4 0ED3B52A
	buffer_load_dwordx4 a[108:111], v46, s[92:95], 0 offen offset:3072// 000000003D28: E05C1C00 80976C2E
	v_mfma_f32_16x16x32_fp8_fp8 v[180:183], a[44:45], v[220:221], v[180:183]// 000000003D30: D3F300B4 0ED3B92C
	v_mfma_f32_16x16x32_fp8_fp8 v[180:183], a[46:47], v[222:223], v[180:183]// 000000003D38: D3F300B4 0ED3BD2E
	v_mfma_f32_16x16x32_fp8_fp8 v[184:187], a[56:57], v[200:201], 0// 000000003D40: D3F300B8 0A039138
	v_mfma_f32_16x16x32_fp8_fp8 v[184:187], a[58:59], v[202:203], v[184:187]// 000000003D48: D3F300B8 0EE3953A
	buffer_load_dwordx4 a[120:123], v47, s[92:95], 0 offen offset:2048// 000000003D50: E05C1800 8097782F
	v_mfma_f32_16x16x32_fp8_fp8 v[184:187], a[60:61], v[204:205], v[184:187]// 000000003D58: D3F300B8 0EE3993C
	v_mfma_f32_16x16x32_fp8_fp8 v[184:187], a[62:63], v[206:207], v[184:187]// 000000003D60: D3F300B8 0EE39D3E
	v_mfma_f32_16x16x32_fp8_fp8 v[188:191], a[56:57], v[216:217], 0// 000000003D68: D3F300BC 0A03B138
	v_mfma_f32_16x16x32_fp8_fp8 v[188:191], a[58:59], v[218:219], v[188:191]// 000000003D70: D3F300BC 0EF3B53A
	buffer_load_dwordx4 a[124:127], v47, s[92:95], 0 offen offset:3072// 000000003D78: E05C1C00 80977C2F
	v_mfma_f32_16x16x32_fp8_fp8 v[188:191], a[60:61], v[220:221], v[188:191]// 000000003D80: D3F300BC 0EF3B93C
	v_mfma_f32_16x16x32_fp8_fp8 v[188:191], a[62:63], v[222:223], v[188:191]// 000000003D88: D3F300BC 0EF3BD3E
	v_mul_f32_dpp v56, v23, v17 row_newbcast:2 row_mask:0xf bank_mask:0xf// 000000003D90: 0A7022FA FF015217
	v_mov_b32_e32 v57, v56                                     // 000000003D98: 7E720338
	v_pk_fma_f32 v[128:129], v[160:161], v[56:57], v[128:129]  // 000000003D9C: D3B04080 1E0271A0
	v_pk_fma_f32 v[130:131], v[162:163], v[56:57], v[130:131]  // 000000003DA4: D3B04082 1E0A71A2
	v_pk_fma_f32 v[136:137], v[168:169], v[56:57], v[136:137]  // 000000003DAC: D3B04088 1E2271A8
	v_pk_fma_f32 v[138:139], v[170:171], v[56:57], v[138:139]  // 000000003DB4: D3B0408A 1E2A71AA
	v_mul_f32_dpp v56, v23, v17 row_newbcast:3 row_mask:0xf bank_mask:0xf// 000000003DBC: 0A7022FA FF015317
	v_mov_b32_e32 v57, v56                                     // 000000003DC4: 7E720338
	v_pk_fma_f32 v[144:145], v[176:177], v[56:57], v[144:145]  // 000000003DC8: D3B04090 1E4271B0
	v_pk_fma_f32 v[146:147], v[178:179], v[56:57], v[146:147]  // 000000003DD0: D3B04092 1E4A71B2
	v_pk_fma_f32 v[152:153], v[184:185], v[56:57], v[152:153]  // 000000003DD8: D3B04098 1E6271B8
	v_pk_fma_f32 v[154:155], v[186:187], v[56:57], v[154:155]  // 000000003DE0: D3B0409A 1E6A71BA
	v_mul_f32_dpp v56, v23, v18 row_newbcast:2 row_mask:0xf bank_mask:0xf// 000000003DE8: 0A7024FA FF015217
	v_mov_b32_e32 v57, v56                                     // 000000003DF0: 7E720338
	v_pk_fma_f32 v[132:133], v[164:165], v[56:57], v[132:133]  // 000000003DF4: D3B04084 1E1271A4
	v_pk_fma_f32 v[134:135], v[166:167], v[56:57], v[134:135]  // 000000003DFC: D3B04086 1E1A71A6
	v_pk_fma_f32 v[140:141], v[172:173], v[56:57], v[140:141]  // 000000003E04: D3B0408C 1E3271AC
	v_pk_fma_f32 v[142:143], v[174:175], v[56:57], v[142:143]  // 000000003E0C: D3B0408E 1E3A71AE
	v_mul_f32_dpp v56, v23, v18 row_newbcast:3 row_mask:0xf bank_mask:0xf// 000000003E14: 0A7024FA FF015317
	v_mov_b32_e32 v57, v56                                     // 000000003E1C: 7E720338
	v_pk_fma_f32 v[148:149], v[180:181], v[56:57], v[148:149]  // 000000003E20: D3B04094 1E5271B4
	v_pk_fma_f32 v[150:151], v[182:183], v[56:57], v[150:151]  // 000000003E28: D3B04096 1E5A71B6
	v_pk_fma_f32 v[156:157], v[188:189], v[56:57], v[156:157]  // 000000003E30: D3B0409C 1E7271BC
	v_pk_fma_f32 v[158:159], v[190:191], v[56:57], v[158:159]  // 000000003E38: D3B0409E 1E7A71BE
	s_add_u32 s60, 0x100, s80                                  // 000000003E40: 803C50FF 00000100
	s_cmp_lt_u32 s60, s81                                      // 000000003E48: BF0A513C
	s_cselect_b32 s4, s4, 0                                    // 000000003E4C: 85048004
	s_add_u32 s32, s4, s32                                     // 000000003E50: 80202004
	s_addc_u32 s33, 0, s33                                     // 000000003E54: 82212180
	s_waitcnt vmcnt(8)                                         // 000000003E58: BF8C0F78
	s_barrier                                                  // 000000003E5C: BF8A0000
	v_mfma_f32_16x16x32_fp8_fp8 v[96:99], a[64:65], v[192:193], 0// 000000003E60: D3F30060 0A038140
	v_mfma_f32_16x16x32_fp8_fp8 v[96:99], a[66:67], v[194:195], v[96:99]// 000000003E68: D3F30060 0D838542
	buffer_load_dwordx4 a[0:3], v44, s[24:27], 0 offen         // 000000003E70: E05C1000 8086002C
	v_mfma_f32_16x16x32_fp8_fp8 v[96:99], a[68:69], v[196:197], v[96:99]// 000000003E78: D3F30060 0D838944
	v_mfma_f32_16x16x32_fp8_fp8 v[96:99], a[70:71], v[198:199], v[96:99]// 000000003E80: D3F30060 0D838D46
	buffer_load_dword v23, v11, s[32:35], 0 offen              // 000000003E88: E0501000 8008170B
	v_mfma_f32_16x16x32_fp8_fp8 v[100:103], a[64:65], v[208:209], 0// 000000003E90: D3F30064 0A03A140
	v_mfma_f32_16x16x32_fp8_fp8 v[100:103], a[66:67], v[210:211], v[100:103]// 000000003E98: D3F30064 0D93A542
	buffer_load_dwordx4 a[4:7], v44, s[24:27], 0 offen offset:1024// 000000003EA0: E05C1400 8086042C
	v_mfma_f32_16x16x32_fp8_fp8 v[100:103], a[68:69], v[212:213], v[100:103]// 000000003EA8: D3F30064 0D93A944
	v_mfma_f32_16x16x32_fp8_fp8 v[100:103], a[70:71], v[214:215], v[100:103]// 000000003EB0: D3F30064 0D93AD46
	v_mfma_f32_16x16x32_fp8_fp8 v[104:107], a[80:81], v[192:193], 0// 000000003EB8: D3F30068 0A038150
	v_mfma_f32_16x16x32_fp8_fp8 v[104:107], a[82:83], v[194:195], v[104:107]// 000000003EC0: D3F30068 0DA38552
	buffer_load_dwordx4 a[16:19], v45, s[24:27], 0 offen       // 000000003EC8: E05C1000 8086102D
	v_mfma_f32_16x16x32_fp8_fp8 v[104:107], a[84:85], v[196:197], v[104:107]// 000000003ED0: D3F30068 0DA38954
	v_mfma_f32_16x16x32_fp8_fp8 v[104:107], a[86:87], v[198:199], v[104:107]// 000000003ED8: D3F30068 0DA38D56
	v_mfma_f32_16x16x32_fp8_fp8 v[108:111], a[80:81], v[208:209], 0// 000000003EE0: D3F3006C 0A03A150
	v_mfma_f32_16x16x32_fp8_fp8 v[108:111], a[82:83], v[210:211], v[108:111]// 000000003EE8: D3F3006C 0DB3A552
	buffer_load_dwordx4 a[20:23], v45, s[24:27], 0 offen offset:1024// 000000003EF0: E05C1400 8086142D
	v_mfma_f32_16x16x32_fp8_fp8 v[108:111], a[84:85], v[212:213], v[108:111]// 000000003EF8: D3F3006C 0DB3A954
	v_mfma_f32_16x16x32_fp8_fp8 v[108:111], a[86:87], v[214:215], v[108:111]// 000000003F00: D3F3006C 0DB3AD56
	v_mfma_f32_16x16x32_fp8_fp8 v[112:115], a[96:97], v[192:193], 0// 000000003F08: D3F30070 0A038160
	v_mfma_f32_16x16x32_fp8_fp8 v[112:115], a[98:99], v[194:195], v[112:115]// 000000003F10: D3F30070 0DC38562
	buffer_load_dwordx4 a[32:35], v46, s[24:27], 0 offen       // 000000003F18: E05C1000 8086202E
	v_mfma_f32_16x16x32_fp8_fp8 v[112:115], a[100:101], v[196:197], v[112:115]// 000000003F20: D3F30070 0DC38964
	v_mfma_f32_16x16x32_fp8_fp8 v[112:115], a[102:103], v[198:199], v[112:115]// 000000003F28: D3F30070 0DC38D66
	v_mfma_f32_16x16x32_fp8_fp8 v[116:119], a[96:97], v[208:209], 0// 000000003F30: D3F30074 0A03A160
	v_mfma_f32_16x16x32_fp8_fp8 v[116:119], a[98:99], v[210:211], v[116:119]// 000000003F38: D3F30074 0DD3A562
	buffer_load_dwordx4 a[36:39], v46, s[24:27], 0 offen offset:1024// 000000003F40: E05C1400 8086242E
	v_mfma_f32_16x16x32_fp8_fp8 v[116:119], a[100:101], v[212:213], v[116:119]// 000000003F48: D3F30074 0DD3A964
	v_mfma_f32_16x16x32_fp8_fp8 v[116:119], a[102:103], v[214:215], v[116:119]// 000000003F50: D3F30074 0DD3AD66
	v_mfma_f32_16x16x32_fp8_fp8 v[120:123], a[112:113], v[192:193], 0// 000000003F58: D3F30078 0A038170
	v_mfma_f32_16x16x32_fp8_fp8 v[120:123], a[114:115], v[194:195], v[120:123]// 000000003F60: D3F30078 0DE38572
	buffer_load_dwordx4 a[48:51], v47, s[24:27], 0 offen       // 000000003F68: E05C1000 8086302F
	v_mfma_f32_16x16x32_fp8_fp8 v[120:123], a[116:117], v[196:197], v[120:123]// 000000003F70: D3F30078 0DE38974
	v_mfma_f32_16x16x32_fp8_fp8 v[120:123], a[118:119], v[198:199], v[120:123]// 000000003F78: D3F30078 0DE38D76
	v_mfma_f32_16x16x32_fp8_fp8 v[124:127], a[112:113], v[208:209], 0// 000000003F80: D3F3007C 0A03A170
	v_mfma_f32_16x16x32_fp8_fp8 v[124:127], a[114:115], v[210:211], v[124:127]// 000000003F88: D3F3007C 0DF3A572
	buffer_load_dwordx4 a[52:55], v47, s[24:27], 0 offen offset:1024// 000000003F90: E05C1400 8086342F
	v_mfma_f32_16x16x32_fp8_fp8 v[124:127], a[116:117], v[212:213], v[124:127]// 000000003F98: D3F3007C 0DF3A974
	v_mfma_f32_16x16x32_fp8_fp8 v[124:127], a[118:119], v[214:215], v[124:127]// 000000003FA0: D3F3007C 0DF3AD76
	v_mul_f32_dpp v56, v24, v15 row_newbcast:0 row_mask:0xf bank_mask:0xf// 000000003FA8: 0A701EFA FF015018
	v_mov_b32_e32 v57, v56                                     // 000000003FB0: 7E720338
	v_pk_fma_f32 v[64:65], v[96:97], v[56:57], v[64:65]        // 000000003FB4: D3B04040 1D027160
	v_pk_fma_f32 v[66:67], v[98:99], v[56:57], v[66:67]        // 000000003FBC: D3B04042 1D0A7162
	v_pk_fma_f32 v[72:73], v[104:105], v[56:57], v[72:73]      // 000000003FC4: D3B04048 1D227168
	v_pk_fma_f32 v[74:75], v[106:107], v[56:57], v[74:75]      // 000000003FCC: D3B0404A 1D2A716A
	v_mul_f32_dpp v56, v24, v15 row_newbcast:1 row_mask:0xf bank_mask:0xf// 000000003FD4: 0A701EFA FF015118
	v_mov_b32_e32 v57, v56                                     // 000000003FDC: 7E720338
	v_pk_fma_f32 v[80:81], v[112:113], v[56:57], v[80:81]      // 000000003FE0: D3B04050 1D427170
	v_pk_fma_f32 v[82:83], v[114:115], v[56:57], v[82:83]      // 000000003FE8: D3B04052 1D4A7172
	v_pk_fma_f32 v[88:89], v[120:121], v[56:57], v[88:89]      // 000000003FF0: D3B04058 1D627178
	v_pk_fma_f32 v[90:91], v[122:123], v[56:57], v[90:91]      // 000000003FF8: D3B0405A 1D6A717A
	v_mul_f32_dpp v56, v24, v16 row_newbcast:0 row_mask:0xf bank_mask:0xf// 000000004000: 0A7020FA FF015018
	v_mov_b32_e32 v57, v56                                     // 000000004008: 7E720338
	v_pk_fma_f32 v[68:69], v[100:101], v[56:57], v[68:69]      // 00000000400C: D3B04044 1D127164
	v_pk_fma_f32 v[70:71], v[102:103], v[56:57], v[70:71]      // 000000004014: D3B04046 1D1A7166
	v_pk_fma_f32 v[76:77], v[108:109], v[56:57], v[76:77]      // 00000000401C: D3B0404C 1D32716C
	v_pk_fma_f32 v[78:79], v[110:111], v[56:57], v[78:79]      // 000000004024: D3B0404E 1D3A716E
	v_mul_f32_dpp v56, v24, v16 row_newbcast:1 row_mask:0xf bank_mask:0xf// 00000000402C: 0A7020FA FF015118
	v_mov_b32_e32 v57, v56                                     // 000000004034: 7E720338
	v_pk_fma_f32 v[84:85], v[116:117], v[56:57], v[84:85]      // 000000004038: D3B04054 1D527174
	v_pk_fma_f32 v[86:87], v[118:119], v[56:57], v[86:87]      // 000000004040: D3B04056 1D5A7176
	v_pk_fma_f32 v[92:93], v[124:125], v[56:57], v[92:93]      // 000000004048: D3B0405C 1D72717C
	v_pk_fma_f32 v[94:95], v[126:127], v[56:57], v[94:95]      // 000000004050: D3B0405E 1D7A717E
	s_waitcnt vmcnt(13)                                        // 000000004058: BF8C0F7D
	v_mfma_f32_16x16x32_fp8_fp8 v[96:99], a[72:73], v[200:201], 0// 00000000405C: D3F30060 0A039148
	v_mfma_f32_16x16x32_fp8_fp8 v[96:99], a[74:75], v[202:203], v[96:99]// 000000004064: D3F30060 0D83954A
	buffer_load_dwordx4 a[8:11], v44, s[24:27], 0 offen offset:2048// 00000000406C: E05C1800 8086082C
	v_mfma_f32_16x16x32_fp8_fp8 v[96:99], a[76:77], v[204:205], v[96:99]// 000000004074: D3F30060 0D83994C
	v_mfma_f32_16x16x32_fp8_fp8 v[96:99], a[78:79], v[206:207], v[96:99]// 00000000407C: D3F30060 0D839D4E
	ds_read_b128 v[224:227], v2 offset:9344                    // 000000004084: D9FE2480 E0000002
	ds_read_b32 v19, v3 offset:17664                           // 00000000408C: D86C4500 13000003
	v_mfma_f32_16x16x32_fp8_fp8 v[100:103], a[72:73], v[216:217], 0// 000000004094: D3F30064 0A03B148
	v_mfma_f32_16x16x32_fp8_fp8 v[100:103], a[74:75], v[218:219], v[100:103]// 00000000409C: D3F30064 0D93B54A
	buffer_load_dwordx4 a[12:15], v44, s[24:27], 0 offen offset:3072// 0000000040A4: E05C1C00 80860C2C
	v_mfma_f32_16x16x32_fp8_fp8 v[100:103], a[76:77], v[220:221], v[100:103]// 0000000040AC: D3F30064 0D93B94C
	v_mfma_f32_16x16x32_fp8_fp8 v[100:103], a[78:79], v[222:223], v[100:103]// 0000000040B4: D3F30064 0D93BD4E
	ds_read_b128 v[228:231], v2 offset:9408                    // 0000000040BC: D9FE24C0 E4000002
	ds_read_b32 v20, v3 offset:17920                           // 0000000040C4: D86C4600 14000003
	v_mfma_f32_16x16x32_fp8_fp8 v[104:107], a[88:89], v[200:201], 0// 0000000040CC: D3F30068 0A039158
	v_mfma_f32_16x16x32_fp8_fp8 v[104:107], a[90:91], v[202:203], v[104:107]// 0000000040D4: D3F30068 0DA3955A
	buffer_load_dwordx4 a[24:27], v45, s[24:27], 0 offen offset:2048// 0000000040DC: E05C1800 8086182D
	v_mfma_f32_16x16x32_fp8_fp8 v[104:107], a[92:93], v[204:205], v[104:107]// 0000000040E4: D3F30068 0DA3995C
	v_mfma_f32_16x16x32_fp8_fp8 v[104:107], a[94:95], v[206:207], v[104:107]// 0000000040EC: D3F30068 0DA39D5E
	ds_read_b128 v[232:235], v2 offset:9472                    // 0000000040F4: D9FE2500 E8000002
	ds_read_b32 v21, v3 offset:18176                           // 0000000040FC: D86C4700 15000003
	v_mfma_f32_16x16x32_fp8_fp8 v[108:111], a[88:89], v[216:217], 0// 000000004104: D3F3006C 0A03B158
	v_mfma_f32_16x16x32_fp8_fp8 v[108:111], a[90:91], v[218:219], v[108:111]// 00000000410C: D3F3006C 0DB3B55A
	buffer_load_dwordx4 a[28:31], v45, s[24:27], 0 offen offset:3072// 000000004114: E05C1C00 80861C2D
	v_mfma_f32_16x16x32_fp8_fp8 v[108:111], a[92:93], v[220:221], v[108:111]// 00000000411C: D3F3006C 0DB3B95C
	v_mfma_f32_16x16x32_fp8_fp8 v[108:111], a[94:95], v[222:223], v[108:111]// 000000004124: D3F3006C 0DB3BD5E
	ds_read_b128 v[236:239], v2 offset:9536                    // 00000000412C: D9FE2540 EC000002
	ds_read_b32 v22, v3 offset:18432                           // 000000004134: D86C4800 16000003
	s_waitcnt vmcnt(13)                                        // 00000000413C: BF8C0F7D
	v_mfma_f32_16x16x32_fp8_fp8 v[112:115], a[104:105], v[200:201], 0// 000000004140: D3F30070 0A039168
	v_mfma_f32_16x16x32_fp8_fp8 v[112:115], a[106:107], v[202:203], v[112:115]// 000000004148: D3F30070 0DC3956A
	buffer_load_dwordx4 a[40:43], v46, s[24:27], 0 offen offset:2048// 000000004150: E05C1800 8086282E
	v_mfma_f32_16x16x32_fp8_fp8 v[112:115], a[108:109], v[204:205], v[112:115]// 000000004158: D3F30070 0DC3996C
	v_mfma_f32_16x16x32_fp8_fp8 v[112:115], a[110:111], v[206:207], v[112:115]// 000000004160: D3F30070 0DC39D6E
	ds_read_b128 v[240:243], v2 offset:10368                   // 000000004168: D9FE2880 F0000002
	v_mfma_f32_16x16x32_fp8_fp8 v[116:119], a[104:105], v[216:217], 0// 000000004170: D3F30074 0A03B168
	v_mfma_f32_16x16x32_fp8_fp8 v[116:119], a[106:107], v[218:219], v[116:119]// 000000004178: D3F30074 0DD3B56A
	buffer_load_dwordx4 a[44:47], v46, s[24:27], 0 offen offset:3072// 000000004180: E05C1C00 80862C2E
	v_mfma_f32_16x16x32_fp8_fp8 v[116:119], a[108:109], v[220:221], v[116:119]// 000000004188: D3F30074 0DD3B96C
	v_mfma_f32_16x16x32_fp8_fp8 v[116:119], a[110:111], v[222:223], v[116:119]// 000000004190: D3F30074 0DD3BD6E
	ds_read_b128 v[244:247], v2 offset:10432                   // 000000004198: D9FE28C0 F4000002
	v_mfma_f32_16x16x32_fp8_fp8 v[120:123], a[120:121], v[200:201], 0// 0000000041A0: D3F30078 0A039178
	v_mfma_f32_16x16x32_fp8_fp8 v[120:123], a[122:123], v[202:203], v[120:123]// 0000000041A8: D3F30078 0DE3957A
	buffer_load_dwordx4 a[56:59], v47, s[24:27], 0 offen offset:2048// 0000000041B0: E05C1800 8086382F
	v_mfma_f32_16x16x32_fp8_fp8 v[120:123], a[124:125], v[204:205], v[120:123]// 0000000041B8: D3F30078 0DE3997C
	v_mfma_f32_16x16x32_fp8_fp8 v[120:123], a[126:127], v[206:207], v[120:123]// 0000000041C0: D3F30078 0DE39D7E
	ds_read_b128 v[248:251], v2 offset:10496                   // 0000000041C8: D9FE2900 F8000002
	v_mfma_f32_16x16x32_fp8_fp8 v[124:127], a[120:121], v[216:217], 0// 0000000041D0: D3F3007C 0A03B178
	v_mfma_f32_16x16x32_fp8_fp8 v[124:127], a[122:123], v[218:219], v[124:127]// 0000000041D8: D3F3007C 0DF3B57A
	buffer_load_dwordx4 a[60:63], v47, s[24:27], 0 offen offset:3072// 0000000041E0: E05C1C00 80863C2F
	v_mfma_f32_16x16x32_fp8_fp8 v[124:127], a[124:125], v[220:221], v[124:127]// 0000000041E8: D3F3007C 0DF3B97C
	v_mfma_f32_16x16x32_fp8_fp8 v[124:127], a[126:127], v[222:223], v[124:127]// 0000000041F0: D3F3007C 0DF3BD7E
	ds_read_b128 v[252:255], v2 offset:10560                   // 0000000041F8: D9FE2940 FC000002
	v_mul_f32_dpp v56, v24, v17 row_newbcast:2 row_mask:0xf bank_mask:0xf// 000000004200: 0A7022FA FF015218
	v_mov_b32_e32 v57, v56                                     // 000000004208: 7E720338
	v_pk_fma_f32 v[64:65], v[96:97], v[56:57], v[64:65]        // 00000000420C: D3B04040 1D027160
	v_pk_fma_f32 v[66:67], v[98:99], v[56:57], v[66:67]        // 000000004214: D3B04042 1D0A7162
	v_pk_fma_f32 v[72:73], v[104:105], v[56:57], v[72:73]      // 00000000421C: D3B04048 1D227168
	v_pk_fma_f32 v[74:75], v[106:107], v[56:57], v[74:75]      // 000000004224: D3B0404A 1D2A716A
	v_mul_f32_dpp v56, v24, v17 row_newbcast:3 row_mask:0xf bank_mask:0xf// 00000000422C: 0A7022FA FF015318
	v_mov_b32_e32 v57, v56                                     // 000000004234: 7E720338
	v_pk_fma_f32 v[80:81], v[112:113], v[56:57], v[80:81]      // 000000004238: D3B04050 1D427170
	v_pk_fma_f32 v[82:83], v[114:115], v[56:57], v[82:83]      // 000000004240: D3B04052 1D4A7172
	v_pk_fma_f32 v[88:89], v[120:121], v[56:57], v[88:89]      // 000000004248: D3B04058 1D627178
	v_pk_fma_f32 v[90:91], v[122:123], v[56:57], v[90:91]      // 000000004250: D3B0405A 1D6A717A
	v_mul_f32_dpp v56, v24, v18 row_newbcast:2 row_mask:0xf bank_mask:0xf// 000000004258: 0A7024FA FF015218
	v_mov_b32_e32 v57, v56                                     // 000000004260: 7E720338
	v_pk_fma_f32 v[68:69], v[100:101], v[56:57], v[68:69]      // 000000004264: D3B04044 1D127164
	v_pk_fma_f32 v[70:71], v[102:103], v[56:57], v[70:71]      // 00000000426C: D3B04046 1D1A7166
	v_pk_fma_f32 v[76:77], v[108:109], v[56:57], v[76:77]      // 000000004274: D3B0404C 1D32716C
	v_pk_fma_f32 v[78:79], v[110:111], v[56:57], v[78:79]      // 00000000427C: D3B0404E 1D3A716E
	v_mul_f32_dpp v56, v24, v18 row_newbcast:3 row_mask:0xf bank_mask:0xf// 000000004284: 0A7024FA FF015318
	v_mov_b32_e32 v57, v56                                     // 00000000428C: 7E720338
	v_pk_fma_f32 v[84:85], v[116:117], v[56:57], v[84:85]      // 000000004290: D3B04054 1D527174
	v_pk_fma_f32 v[86:87], v[118:119], v[56:57], v[86:87]      // 000000004298: D3B04056 1D5A7176
	v_pk_fma_f32 v[92:93], v[124:125], v[56:57], v[92:93]      // 0000000042A0: D3B0405C 1D72717C
	v_pk_fma_f32 v[94:95], v[126:127], v[56:57], v[94:95]      // 0000000042A8: D3B0405E 1D7A717E
	s_add_u32 s60, 0x200, s80                                  // 0000000042B0: 803C50FF 00000200
	s_cmp_lt_u32 s60, s81                                      // 0000000042B8: BF0A513C
	s_cselect_b32 s57, s57, 0                                  // 0000000042BC: 85398039
	s_cselect_b32 s3, s3, 0                                    // 0000000042C0: 85038003
	s_add_u32 s60, 0x200, s80                                  // 0000000042C4: 803C50FF 00000200
	s_cmp_lt_u32 s60, s81                                      // 0000000042CC: BF0A513C
	s_cselect_b32 s58, s58, 0                                  // 0000000042D0: 853A803A
	s_add_u32 s20, s57, s20                                    // 0000000042D4: 80141439
	s_addc_u32 s21, 0, s21                                     // 0000000042D8: 82151580
	s_add_u32 s28, s3, s28                                     // 0000000042DC: 801C1C03
	s_addc_u32 s29, 0, s29                                     // 0000000042E0: 821D1D80
	s_add_u32 s24, s58, s24                                    // 0000000042E4: 8018183A
	s_addc_u32 s25, 0, s25                                     // 0000000042E8: 82191980
	s_add_u32 s92, s90, s92                                    // 0000000042EC: 805C5C5A
	s_addc_u32 s93, 0, s93                                     // 0000000042F0: 825D5D80
	s_addk_i32 s80, 0x100                                      // 0000000042F4: B7500100
	s_cmp_lt_i32 s80, s81                                      // 0000000042F8: BF045150
	s_cbranch_scc0 label_0791                                  // 0000000042FC: BF840251
	s_waitcnt vmcnt(8) lgkmcnt(0)                              // 000000004300: BF8C0078
	s_barrier                                                  // 000000004304: BF8A0000
	v_mfma_f32_16x16x32_fp8_fp8 v[160:163], a[0:1], v[224:225], 0// 000000004308: D3F300A0 0A03C100
	v_mfma_f32_16x16x32_fp8_fp8 v[160:163], a[2:3], v[226:227], v[160:163]// 000000004310: D3F300A0 0E83C502
	buffer_load_dwordx4 a[64:67], v44, s[92:95], 0 offen       // 000000004318: E05C1000 8097402C
	v_mfma_f32_16x16x32_fp8_fp8 v[160:163], a[4:5], v[228:229], v[160:163]// 000000004320: D3F300A0 0E83C904
	v_mfma_f32_16x16x32_fp8_fp8 v[160:163], a[6:7], v[230:231], v[160:163]// 000000004328: D3F300A0 0E83CD06
	buffer_load_dword v36, s[20:23], 0 offen lds               // 000000004330: E0511000 80050024
	s_add_u32 m0, 0x100, s50                                   // 000000004338: 807C32FF 00000100
	v_mfma_f32_16x16x32_fp8_fp8 v[164:167], a[0:1], v[240:241], 0// 000000004340: D3F300A4 0A03E100
	v_mfma_f32_16x16x32_fp8_fp8 v[164:167], a[2:3], v[242:243], v[164:167]// 000000004348: D3F300A4 0E93E502
	buffer_load_dwordx4 a[68:71], v44, s[92:95], 0 offen offset:1024// 000000004350: E05C1400 8097442C
	v_mfma_f32_16x16x32_fp8_fp8 v[164:167], a[4:5], v[244:245], v[164:167]// 000000004358: D3F300A4 0E93E904
	v_mfma_f32_16x16x32_fp8_fp8 v[164:167], a[6:7], v[246:247], v[164:167]// 000000004360: D3F300A4 0E93ED06
	buffer_load_dword v37, s[20:23], 0 offen lds               // 000000004368: E0511000 80050025
	s_add_u32 m0, 0x200, s50                                   // 000000004370: 807C32FF 00000200
	v_mfma_f32_16x16x32_fp8_fp8 v[168:171], a[16:17], v[224:225], 0// 000000004378: D3F300A8 0A03C110
	v_mfma_f32_16x16x32_fp8_fp8 v[168:171], a[18:19], v[226:227], v[168:171]// 000000004380: D3F300A8 0EA3C512
	buffer_load_dwordx4 a[80:83], v45, s[92:95], 0 offen       // 000000004388: E05C1000 8097502D
	v_mfma_f32_16x16x32_fp8_fp8 v[168:171], a[20:21], v[228:229], v[168:171]// 000000004390: D3F300A8 0EA3C914
	v_mfma_f32_16x16x32_fp8_fp8 v[168:171], a[22:23], v[230:231], v[168:171]// 000000004398: D3F300A8 0EA3CD16
	buffer_load_dword v38, s[20:23], 0 offen lds               // 0000000043A0: E0511000 80050026
	s_add_u32 m0, 0x300, s50                                   // 0000000043A8: 807C32FF 00000300
	v_mfma_f32_16x16x32_fp8_fp8 v[172:175], a[16:17], v[240:241], 0// 0000000043B0: D3F300AC 0A03E110
	v_mfma_f32_16x16x32_fp8_fp8 v[172:175], a[18:19], v[242:243], v[172:175]// 0000000043B8: D3F300AC 0EB3E512
	buffer_load_dwordx4 a[84:87], v45, s[92:95], 0 offen offset:1024// 0000000043C0: E05C1400 8097542D
	v_mfma_f32_16x16x32_fp8_fp8 v[172:175], a[20:21], v[244:245], v[172:175]// 0000000043C8: D3F300AC 0EB3E914
	v_mfma_f32_16x16x32_fp8_fp8 v[172:175], a[22:23], v[246:247], v[172:175]// 0000000043D0: D3F300AC 0EB3ED16
	buffer_load_dword v39, s[20:23], 0 offen lds               // 0000000043D8: E0511000 80050027
	s_add_u32 m0, 0x400, s50                                   // 0000000043E0: 807C32FF 00000400
	v_mfma_f32_16x16x32_fp8_fp8 v[176:179], a[32:33], v[224:225], 0// 0000000043E8: D3F300B0 0A03C120
	v_mfma_f32_16x16x32_fp8_fp8 v[176:179], a[34:35], v[226:227], v[176:179]// 0000000043F0: D3F300B0 0EC3C522
	buffer_load_dwordx4 a[96:99], v46, s[92:95], 0 offen       // 0000000043F8: E05C1000 8097602E
	v_mfma_f32_16x16x32_fp8_fp8 v[176:179], a[36:37], v[228:229], v[176:179]// 000000004400: D3F300B0 0EC3C924
	v_mfma_f32_16x16x32_fp8_fp8 v[176:179], a[38:39], v[230:231], v[176:179]// 000000004408: D3F300B0 0EC3CD26
	buffer_load_dword v40, s[20:23], 0 offen lds               // 000000004410: E0511000 80050028
	s_add_u32 m0, 0x500, s50                                   // 000000004418: 807C32FF 00000500
	v_mfma_f32_16x16x32_fp8_fp8 v[180:183], a[32:33], v[240:241], 0// 000000004420: D3F300B4 0A03E120
	v_mfma_f32_16x16x32_fp8_fp8 v[180:183], a[34:35], v[242:243], v[180:183]// 000000004428: D3F300B4 0ED3E522
	buffer_load_dwordx4 a[100:103], v46, s[92:95], 0 offen offset:1024// 000000004430: E05C1400 8097642E
	v_mfma_f32_16x16x32_fp8_fp8 v[180:183], a[36:37], v[244:245], v[180:183]// 000000004438: D3F300B4 0ED3E924
	v_mfma_f32_16x16x32_fp8_fp8 v[180:183], a[38:39], v[246:247], v[180:183]// 000000004440: D3F300B4 0ED3ED26
	buffer_load_dword v41, s[20:23], 0 offen lds               // 000000004448: E0511000 80050029
	s_add_u32 m0, 0x600, s50                                   // 000000004450: 807C32FF 00000600
	v_mfma_f32_16x16x32_fp8_fp8 v[184:187], a[48:49], v[224:225], 0// 000000004458: D3F300B8 0A03C130
	v_mfma_f32_16x16x32_fp8_fp8 v[184:187], a[50:51], v[226:227], v[184:187]// 000000004460: D3F300B8 0EE3C532
	buffer_load_dwordx4 a[112:115], v47, s[92:95], 0 offen     // 000000004468: E05C1000 8097702F
	v_mfma_f32_16x16x32_fp8_fp8 v[184:187], a[52:53], v[228:229], v[184:187]// 000000004470: D3F300B8 0EE3C934
	v_mfma_f32_16x16x32_fp8_fp8 v[184:187], a[54:55], v[230:231], v[184:187]// 000000004478: D3F300B8 0EE3CD36
	buffer_load_dword v42, s[20:23], 0 offen lds               // 000000004480: E0511000 8005002A
	s_add_u32 m0, 0x700, s50                                   // 000000004488: 807C32FF 00000700
	v_mfma_f32_16x16x32_fp8_fp8 v[188:191], a[48:49], v[240:241], 0// 000000004490: D3F300BC 0A03E130
	v_mfma_f32_16x16x32_fp8_fp8 v[188:191], a[50:51], v[242:243], v[188:191]// 000000004498: D3F300BC 0EF3E532
	buffer_load_dwordx4 a[116:119], v47, s[92:95], 0 offen offset:1024// 0000000044A0: E05C1400 8097742F
	v_mfma_f32_16x16x32_fp8_fp8 v[188:191], a[52:53], v[244:245], v[188:191]// 0000000044A8: D3F300BC 0EF3E934
	v_mfma_f32_16x16x32_fp8_fp8 v[188:191], a[54:55], v[246:247], v[188:191]// 0000000044B0: D3F300BC 0EF3ED36
	buffer_load_dword v43, s[20:23], 0 offen lds               // 0000000044B8: E0511000 8005002B
	s_add_u32 m0, s50, s76                                     // 0000000044C0: 807C4C32
	buffer_load_dword v7, s[28:31], 0 offen lds                // 0000000044C4: E0511000 80070007
	s_add_u32 m0, 0, s51                                       // 0000000044CC: 807C3380
	buffer_load_dword v24, v13, s[32:35], 0 offen              // 0000000044D0: E0501000 8008180D
	v_mul_f32_dpp v56, v23, v19 row_newbcast:0 row_mask:0xf bank_mask:0xf// 0000000044D8: 0A7026FA FF015017
	v_mov_b32_e32 v57, v56                                     // 0000000044E0: 7E720338
	v_pk_fma_f32 v[128:129], v[160:161], v[56:57], v[128:129]  // 0000000044E4: D3B04080 1E0271A0
	v_pk_fma_f32 v[130:131], v[162:163], v[56:57], v[130:131]  // 0000000044EC: D3B04082 1E0A71A2
	v_pk_fma_f32 v[136:137], v[168:169], v[56:57], v[136:137]  // 0000000044F4: D3B04088 1E2271A8
	v_pk_fma_f32 v[138:139], v[170:171], v[56:57], v[138:139]  // 0000000044FC: D3B0408A 1E2A71AA
	v_mul_f32_dpp v56, v23, v19 row_newbcast:1 row_mask:0xf bank_mask:0xf// 000000004504: 0A7026FA FF015117
	v_mov_b32_e32 v57, v56                                     // 00000000450C: 7E720338
	v_pk_fma_f32 v[144:145], v[176:177], v[56:57], v[144:145]  // 000000004510: D3B04090 1E4271B0
	v_pk_fma_f32 v[146:147], v[178:179], v[56:57], v[146:147]  // 000000004518: D3B04092 1E4A71B2
	v_pk_fma_f32 v[152:153], v[184:185], v[56:57], v[152:153]  // 000000004520: D3B04098 1E6271B8
	v_pk_fma_f32 v[154:155], v[186:187], v[56:57], v[154:155]  // 000000004528: D3B0409A 1E6A71BA
	v_mul_f32_dpp v56, v23, v20 row_newbcast:0 row_mask:0xf bank_mask:0xf// 000000004530: 0A7028FA FF015017
	v_mov_b32_e32 v57, v56                                     // 000000004538: 7E720338
	v_pk_fma_f32 v[132:133], v[164:165], v[56:57], v[132:133]  // 00000000453C: D3B04084 1E1271A4
	v_pk_fma_f32 v[134:135], v[166:167], v[56:57], v[134:135]  // 000000004544: D3B04086 1E1A71A6
	v_pk_fma_f32 v[140:141], v[172:173], v[56:57], v[140:141]  // 00000000454C: D3B0408C 1E3271AC
	v_pk_fma_f32 v[142:143], v[174:175], v[56:57], v[142:143]  // 000000004554: D3B0408E 1E3A71AE
	v_mul_f32_dpp v56, v23, v20 row_newbcast:1 row_mask:0xf bank_mask:0xf// 00000000455C: 0A7028FA FF015117
	v_mov_b32_e32 v57, v56                                     // 000000004564: 7E720338
	v_pk_fma_f32 v[148:149], v[180:181], v[56:57], v[148:149]  // 000000004568: D3B04094 1E5271B4
	v_pk_fma_f32 v[150:151], v[182:183], v[56:57], v[150:151]  // 000000004570: D3B04096 1E5A71B6
	v_pk_fma_f32 v[156:157], v[188:189], v[56:57], v[156:157]  // 000000004578: D3B0409C 1E7271BC
	v_pk_fma_f32 v[158:159], v[190:191], v[56:57], v[158:159]  // 000000004580: D3B0409E 1E7A71BE
	s_waitcnt vmcnt(22)                                        // 000000004588: BF8C4F76
	v_mfma_f32_16x16x32_fp8_fp8 v[160:163], a[8:9], v[232:233], 0// 00000000458C: D3F300A0 0A03D108
	v_mfma_f32_16x16x32_fp8_fp8 v[160:163], a[10:11], v[234:235], v[160:163]// 000000004594: D3F300A0 0E83D50A
	buffer_load_dwordx4 a[72:75], v44, s[92:95], 0 offen offset:2048// 00000000459C: E05C1800 8097482C
	v_mfma_f32_16x16x32_fp8_fp8 v[160:163], a[12:13], v[236:237], v[160:163]// 0000000045A4: D3F300A0 0E83D90C
	v_mfma_f32_16x16x32_fp8_fp8 v[160:163], a[14:15], v[238:239], v[160:163]// 0000000045AC: D3F300A0 0E83DD0E
	v_mfma_f32_16x16x32_fp8_fp8 v[164:167], a[8:9], v[248:249], 0// 0000000045B4: D3F300A4 0A03F108
	v_mfma_f32_16x16x32_fp8_fp8 v[164:167], a[10:11], v[250:251], v[164:167]// 0000000045BC: D3F300A4 0E93F50A
	buffer_load_dwordx4 a[76:79], v44, s[92:95], 0 offen offset:3072// 0000000045C4: E05C1C00 80974C2C
	v_mfma_f32_16x16x32_fp8_fp8 v[164:167], a[12:13], v[252:253], v[164:167]// 0000000045CC: D3F300A4 0E93F90C
	v_mfma_f32_16x16x32_fp8_fp8 v[164:167], a[14:15], v[254:255], v[164:167]// 0000000045D4: D3F300A4 0E93FD0E
	v_mfma_f32_16x16x32_fp8_fp8 v[168:171], a[24:25], v[232:233], 0// 0000000045DC: D3F300A8 0A03D118
	v_mfma_f32_16x16x32_fp8_fp8 v[168:171], a[26:27], v[234:235], v[168:171]// 0000000045E4: D3F300A8 0EA3D51A
	buffer_load_dwordx4 a[88:91], v45, s[92:95], 0 offen offset:2048// 0000000045EC: E05C1800 8097582D
	v_mfma_f32_16x16x32_fp8_fp8 v[168:171], a[28:29], v[236:237], v[168:171]// 0000000045F4: D3F300A8 0EA3D91C
	v_mfma_f32_16x16x32_fp8_fp8 v[168:171], a[30:31], v[238:239], v[168:171]// 0000000045FC: D3F300A8 0EA3DD1E
	v_mfma_f32_16x16x32_fp8_fp8 v[172:175], a[24:25], v[248:249], 0// 000000004604: D3F300AC 0A03F118
	v_mfma_f32_16x16x32_fp8_fp8 v[172:175], a[26:27], v[250:251], v[172:175]// 00000000460C: D3F300AC 0EB3F51A
	buffer_load_dwordx4 a[92:95], v45, s[92:95], 0 offen offset:3072// 000000004614: E05C1C00 80975C2D
	v_mfma_f32_16x16x32_fp8_fp8 v[172:175], a[28:29], v[252:253], v[172:175]// 00000000461C: D3F300AC 0EB3F91C
	v_mfma_f32_16x16x32_fp8_fp8 v[172:175], a[30:31], v[254:255], v[172:175]// 000000004624: D3F300AC 0EB3FD1E
	s_waitcnt vmcnt(22)                                        // 00000000462C: BF8C4F76
	v_mfma_f32_16x16x32_fp8_fp8 v[176:179], a[40:41], v[232:233], 0// 000000004630: D3F300B0 0A03D128
	v_mfma_f32_16x16x32_fp8_fp8 v[176:179], a[42:43], v[234:235], v[176:179]// 000000004638: D3F300B0 0EC3D52A
	buffer_load_dwordx4 a[104:107], v46, s[92:95], 0 offen offset:2048// 000000004640: E05C1800 8097682E
	v_mfma_f32_16x16x32_fp8_fp8 v[176:179], a[44:45], v[236:237], v[176:179]// 000000004648: D3F300B0 0EC3D92C
	v_mfma_f32_16x16x32_fp8_fp8 v[176:179], a[46:47], v[238:239], v[176:179]// 000000004650: D3F300B0 0EC3DD2E
	v_mfma_f32_16x16x32_fp8_fp8 v[180:183], a[40:41], v[248:249], 0// 000000004658: D3F300B4 0A03F128
	v_mfma_f32_16x16x32_fp8_fp8 v[180:183], a[42:43], v[250:251], v[180:183]// 000000004660: D3F300B4 0ED3F52A
	buffer_load_dwordx4 a[108:111], v46, s[92:95], 0 offen offset:3072// 000000004668: E05C1C00 80976C2E
	v_mfma_f32_16x16x32_fp8_fp8 v[180:183], a[44:45], v[252:253], v[180:183]// 000000004670: D3F300B4 0ED3F92C
	v_mfma_f32_16x16x32_fp8_fp8 v[180:183], a[46:47], v[254:255], v[180:183]// 000000004678: D3F300B4 0ED3FD2E
	v_mfma_f32_16x16x32_fp8_fp8 v[184:187], a[56:57], v[232:233], 0// 000000004680: D3F300B8 0A03D138
	v_mfma_f32_16x16x32_fp8_fp8 v[184:187], a[58:59], v[234:235], v[184:187]// 000000004688: D3F300B8 0EE3D53A
	buffer_load_dwordx4 a[120:123], v47, s[92:95], 0 offen offset:2048// 000000004690: E05C1800 8097782F
	v_mfma_f32_16x16x32_fp8_fp8 v[184:187], a[60:61], v[236:237], v[184:187]// 000000004698: D3F300B8 0EE3D93C
	v_mfma_f32_16x16x32_fp8_fp8 v[184:187], a[62:63], v[238:239], v[184:187]// 0000000046A0: D3F300B8 0EE3DD3E
	v_mfma_f32_16x16x32_fp8_fp8 v[188:191], a[56:57], v[248:249], 0// 0000000046A8: D3F300BC 0A03F138
	v_mfma_f32_16x16x32_fp8_fp8 v[188:191], a[58:59], v[250:251], v[188:191]// 0000000046B0: D3F300BC 0EF3F53A
	buffer_load_dwordx4 a[124:127], v47, s[92:95], 0 offen offset:3072// 0000000046B8: E05C1C00 80977C2F
	v_mfma_f32_16x16x32_fp8_fp8 v[188:191], a[60:61], v[252:253], v[188:191]// 0000000046C0: D3F300BC 0EF3F93C
	v_mfma_f32_16x16x32_fp8_fp8 v[188:191], a[62:63], v[254:255], v[188:191]// 0000000046C8: D3F300BC 0EF3FD3E
	v_mul_f32_dpp v56, v23, v21 row_newbcast:2 row_mask:0xf bank_mask:0xf// 0000000046D0: 0A702AFA FF015217
	v_mov_b32_e32 v57, v56                                     // 0000000046D8: 7E720338
	v_pk_fma_f32 v[128:129], v[160:161], v[56:57], v[128:129]  // 0000000046DC: D3B04080 1E0271A0
	v_pk_fma_f32 v[130:131], v[162:163], v[56:57], v[130:131]  // 0000000046E4: D3B04082 1E0A71A2
	v_pk_fma_f32 v[136:137], v[168:169], v[56:57], v[136:137]  // 0000000046EC: D3B04088 1E2271A8
	v_pk_fma_f32 v[138:139], v[170:171], v[56:57], v[138:139]  // 0000000046F4: D3B0408A 1E2A71AA
	v_mul_f32_dpp v56, v23, v21 row_newbcast:3 row_mask:0xf bank_mask:0xf// 0000000046FC: 0A702AFA FF015317
	v_mov_b32_e32 v57, v56                                     // 000000004704: 7E720338
	v_pk_fma_f32 v[144:145], v[176:177], v[56:57], v[144:145]  // 000000004708: D3B04090 1E4271B0
	v_pk_fma_f32 v[146:147], v[178:179], v[56:57], v[146:147]  // 000000004710: D3B04092 1E4A71B2
	v_pk_fma_f32 v[152:153], v[184:185], v[56:57], v[152:153]  // 000000004718: D3B04098 1E6271B8
	v_pk_fma_f32 v[154:155], v[186:187], v[56:57], v[154:155]  // 000000004720: D3B0409A 1E6A71BA
	v_mul_f32_dpp v56, v23, v22 row_newbcast:2 row_mask:0xf bank_mask:0xf// 000000004728: 0A702CFA FF015217
	v_mov_b32_e32 v57, v56                                     // 000000004730: 7E720338
	v_pk_fma_f32 v[132:133], v[164:165], v[56:57], v[132:133]  // 000000004734: D3B04084 1E1271A4
	v_pk_fma_f32 v[134:135], v[166:167], v[56:57], v[134:135]  // 00000000473C: D3B04086 1E1A71A6
	v_pk_fma_f32 v[140:141], v[172:173], v[56:57], v[140:141]  // 000000004744: D3B0408C 1E3271AC
	v_pk_fma_f32 v[142:143], v[174:175], v[56:57], v[142:143]  // 00000000474C: D3B0408E 1E3A71AE
	v_mul_f32_dpp v56, v23, v22 row_newbcast:3 row_mask:0xf bank_mask:0xf// 000000004754: 0A702CFA FF015317
	v_mov_b32_e32 v57, v56                                     // 00000000475C: 7E720338
	v_pk_fma_f32 v[148:149], v[180:181], v[56:57], v[148:149]  // 000000004760: D3B04094 1E5271B4
	v_pk_fma_f32 v[150:151], v[182:183], v[56:57], v[150:151]  // 000000004768: D3B04096 1E5A71B6
	v_pk_fma_f32 v[156:157], v[188:189], v[56:57], v[156:157]  // 000000004770: D3B0409C 1E7271BC
	v_pk_fma_f32 v[158:159], v[190:191], v[56:57], v[158:159]  // 000000004778: D3B0409E 1E7A71BE
	s_add_u32 s60, 0x100, s80                                  // 000000004780: 803C50FF 00000100
	s_cmp_lt_u32 s60, s81                                      // 000000004788: BF0A513C
	s_cselect_b32 s4, s4, 0                                    // 00000000478C: 85048004
	s_add_u32 s32, s4, s32                                     // 000000004790: 80202004
	s_addc_u32 s33, 0, s33                                     // 000000004794: 82212180
	s_waitcnt vmcnt(8)                                         // 000000004798: BF8C0F78
	s_barrier                                                  // 00000000479C: BF8A0000
	v_mfma_f32_16x16x32_fp8_fp8 v[96:99], a[64:65], v[224:225], 0// 0000000047A0: D3F30060 0A03C140
	v_mfma_f32_16x16x32_fp8_fp8 v[96:99], a[66:67], v[226:227], v[96:99]// 0000000047A8: D3F30060 0D83C542
	buffer_load_dwordx4 a[0:3], v44, s[24:27], 0 offen         // 0000000047B0: E05C1000 8086002C
	v_mfma_f32_16x16x32_fp8_fp8 v[96:99], a[68:69], v[228:229], v[96:99]// 0000000047B8: D3F30060 0D83C944
	v_mfma_f32_16x16x32_fp8_fp8 v[96:99], a[70:71], v[230:231], v[96:99]// 0000000047C0: D3F30060 0D83CD46
	buffer_load_dword v23, v11, s[32:35], 0 offen              // 0000000047C8: E0501000 8008170B
	v_mfma_f32_16x16x32_fp8_fp8 v[100:103], a[64:65], v[240:241], 0// 0000000047D0: D3F30064 0A03E140
	v_mfma_f32_16x16x32_fp8_fp8 v[100:103], a[66:67], v[242:243], v[100:103]// 0000000047D8: D3F30064 0D93E542
	buffer_load_dwordx4 a[4:7], v44, s[24:27], 0 offen offset:1024// 0000000047E0: E05C1400 8086042C
	v_mfma_f32_16x16x32_fp8_fp8 v[100:103], a[68:69], v[244:245], v[100:103]// 0000000047E8: D3F30064 0D93E944
	v_mfma_f32_16x16x32_fp8_fp8 v[100:103], a[70:71], v[246:247], v[100:103]// 0000000047F0: D3F30064 0D93ED46
	v_mfma_f32_16x16x32_fp8_fp8 v[104:107], a[80:81], v[224:225], 0// 0000000047F8: D3F30068 0A03C150
	v_mfma_f32_16x16x32_fp8_fp8 v[104:107], a[82:83], v[226:227], v[104:107]// 000000004800: D3F30068 0DA3C552
	buffer_load_dwordx4 a[16:19], v45, s[24:27], 0 offen       // 000000004808: E05C1000 8086102D
	v_mfma_f32_16x16x32_fp8_fp8 v[104:107], a[84:85], v[228:229], v[104:107]// 000000004810: D3F30068 0DA3C954
	v_mfma_f32_16x16x32_fp8_fp8 v[104:107], a[86:87], v[230:231], v[104:107]// 000000004818: D3F30068 0DA3CD56
	v_mfma_f32_16x16x32_fp8_fp8 v[108:111], a[80:81], v[240:241], 0// 000000004820: D3F3006C 0A03E150
	v_mfma_f32_16x16x32_fp8_fp8 v[108:111], a[82:83], v[242:243], v[108:111]// 000000004828: D3F3006C 0DB3E552
	buffer_load_dwordx4 a[20:23], v45, s[24:27], 0 offen offset:1024// 000000004830: E05C1400 8086142D
	v_mfma_f32_16x16x32_fp8_fp8 v[108:111], a[84:85], v[244:245], v[108:111]// 000000004838: D3F3006C 0DB3E954
	v_mfma_f32_16x16x32_fp8_fp8 v[108:111], a[86:87], v[246:247], v[108:111]// 000000004840: D3F3006C 0DB3ED56
	v_mfma_f32_16x16x32_fp8_fp8 v[112:115], a[96:97], v[224:225], 0// 000000004848: D3F30070 0A03C160
	v_mfma_f32_16x16x32_fp8_fp8 v[112:115], a[98:99], v[226:227], v[112:115]// 000000004850: D3F30070 0DC3C562
	buffer_load_dwordx4 a[32:35], v46, s[24:27], 0 offen       // 000000004858: E05C1000 8086202E
	v_mfma_f32_16x16x32_fp8_fp8 v[112:115], a[100:101], v[228:229], v[112:115]// 000000004860: D3F30070 0DC3C964
	v_mfma_f32_16x16x32_fp8_fp8 v[112:115], a[102:103], v[230:231], v[112:115]// 000000004868: D3F30070 0DC3CD66
	v_mfma_f32_16x16x32_fp8_fp8 v[116:119], a[96:97], v[240:241], 0// 000000004870: D3F30074 0A03E160
	v_mfma_f32_16x16x32_fp8_fp8 v[116:119], a[98:99], v[242:243], v[116:119]// 000000004878: D3F30074 0DD3E562
	buffer_load_dwordx4 a[36:39], v46, s[24:27], 0 offen offset:1024// 000000004880: E05C1400 8086242E
	v_mfma_f32_16x16x32_fp8_fp8 v[116:119], a[100:101], v[244:245], v[116:119]// 000000004888: D3F30074 0DD3E964
	v_mfma_f32_16x16x32_fp8_fp8 v[116:119], a[102:103], v[246:247], v[116:119]// 000000004890: D3F30074 0DD3ED66
	v_mfma_f32_16x16x32_fp8_fp8 v[120:123], a[112:113], v[224:225], 0// 000000004898: D3F30078 0A03C170
	v_mfma_f32_16x16x32_fp8_fp8 v[120:123], a[114:115], v[226:227], v[120:123]// 0000000048A0: D3F30078 0DE3C572
	buffer_load_dwordx4 a[48:51], v47, s[24:27], 0 offen       // 0000000048A8: E05C1000 8086302F
	v_mfma_f32_16x16x32_fp8_fp8 v[120:123], a[116:117], v[228:229], v[120:123]// 0000000048B0: D3F30078 0DE3C974
	v_mfma_f32_16x16x32_fp8_fp8 v[120:123], a[118:119], v[230:231], v[120:123]// 0000000048B8: D3F30078 0DE3CD76
	v_mfma_f32_16x16x32_fp8_fp8 v[124:127], a[112:113], v[240:241], 0// 0000000048C0: D3F3007C 0A03E170
	v_mfma_f32_16x16x32_fp8_fp8 v[124:127], a[114:115], v[242:243], v[124:127]// 0000000048C8: D3F3007C 0DF3E572
	buffer_load_dwordx4 a[52:55], v47, s[24:27], 0 offen offset:1024// 0000000048D0: E05C1400 8086342F
	v_mfma_f32_16x16x32_fp8_fp8 v[124:127], a[116:117], v[244:245], v[124:127]// 0000000048D8: D3F3007C 0DF3E974
	v_mfma_f32_16x16x32_fp8_fp8 v[124:127], a[118:119], v[246:247], v[124:127]// 0000000048E0: D3F3007C 0DF3ED76
	v_mul_f32_dpp v56, v24, v19 row_newbcast:0 row_mask:0xf bank_mask:0xf// 0000000048E8: 0A7026FA FF015018
	v_mov_b32_e32 v57, v56                                     // 0000000048F0: 7E720338
	v_pk_fma_f32 v[64:65], v[96:97], v[56:57], v[64:65]        // 0000000048F4: D3B04040 1D027160
	v_pk_fma_f32 v[66:67], v[98:99], v[56:57], v[66:67]        // 0000000048FC: D3B04042 1D0A7162
	v_pk_fma_f32 v[72:73], v[104:105], v[56:57], v[72:73]      // 000000004904: D3B04048 1D227168
	v_pk_fma_f32 v[74:75], v[106:107], v[56:57], v[74:75]      // 00000000490C: D3B0404A 1D2A716A
	v_mul_f32_dpp v56, v24, v19 row_newbcast:1 row_mask:0xf bank_mask:0xf// 000000004914: 0A7026FA FF015118
	v_mov_b32_e32 v57, v56                                     // 00000000491C: 7E720338
	v_pk_fma_f32 v[80:81], v[112:113], v[56:57], v[80:81]      // 000000004920: D3B04050 1D427170
	v_pk_fma_f32 v[82:83], v[114:115], v[56:57], v[82:83]      // 000000004928: D3B04052 1D4A7172
	v_pk_fma_f32 v[88:89], v[120:121], v[56:57], v[88:89]      // 000000004930: D3B04058 1D627178
	v_pk_fma_f32 v[90:91], v[122:123], v[56:57], v[90:91]      // 000000004938: D3B0405A 1D6A717A
	v_mul_f32_dpp v56, v24, v20 row_newbcast:0 row_mask:0xf bank_mask:0xf// 000000004940: 0A7028FA FF015018
	v_mov_b32_e32 v57, v56                                     // 000000004948: 7E720338
	v_pk_fma_f32 v[68:69], v[100:101], v[56:57], v[68:69]      // 00000000494C: D3B04044 1D127164
	v_pk_fma_f32 v[70:71], v[102:103], v[56:57], v[70:71]      // 000000004954: D3B04046 1D1A7166
	v_pk_fma_f32 v[76:77], v[108:109], v[56:57], v[76:77]      // 00000000495C: D3B0404C 1D32716C
	v_pk_fma_f32 v[78:79], v[110:111], v[56:57], v[78:79]      // 000000004964: D3B0404E 1D3A716E
	v_mul_f32_dpp v56, v24, v20 row_newbcast:1 row_mask:0xf bank_mask:0xf// 00000000496C: 0A7028FA FF015118
	v_mov_b32_e32 v57, v56                                     // 000000004974: 7E720338
	v_pk_fma_f32 v[84:85], v[116:117], v[56:57], v[84:85]      // 000000004978: D3B04054 1D527174
	v_pk_fma_f32 v[86:87], v[118:119], v[56:57], v[86:87]      // 000000004980: D3B04056 1D5A7176
	v_pk_fma_f32 v[92:93], v[124:125], v[56:57], v[92:93]      // 000000004988: D3B0405C 1D72717C
	v_pk_fma_f32 v[94:95], v[126:127], v[56:57], v[94:95]      // 000000004990: D3B0405E 1D7A717E
	s_waitcnt vmcnt(13)                                        // 000000004998: BF8C0F7D
	v_mfma_f32_16x16x32_fp8_fp8 v[96:99], a[72:73], v[232:233], 0// 00000000499C: D3F30060 0A03D148
	v_mfma_f32_16x16x32_fp8_fp8 v[96:99], a[74:75], v[234:235], v[96:99]// 0000000049A4: D3F30060 0D83D54A
	buffer_load_dwordx4 a[8:11], v44, s[24:27], 0 offen offset:2048// 0000000049AC: E05C1800 8086082C
	v_mfma_f32_16x16x32_fp8_fp8 v[96:99], a[76:77], v[236:237], v[96:99]// 0000000049B4: D3F30060 0D83D94C
	v_mfma_f32_16x16x32_fp8_fp8 v[96:99], a[78:79], v[238:239], v[96:99]// 0000000049BC: D3F30060 0D83DD4E
	ds_read_b128 v[192:195], v2                                // 0000000049C4: D9FE0000 C0000002
	ds_read_b32 v15, v3 offset:8320                            // 0000000049CC: D86C2080 0F000003
	v_mfma_f32_16x16x32_fp8_fp8 v[100:103], a[72:73], v[248:249], 0// 0000000049D4: D3F30064 0A03F148
	v_mfma_f32_16x16x32_fp8_fp8 v[100:103], a[74:75], v[250:251], v[100:103]// 0000000049DC: D3F30064 0D93F54A
	buffer_load_dwordx4 a[12:15], v44, s[24:27], 0 offen offset:3072// 0000000049E4: E05C1C00 80860C2C
	v_mfma_f32_16x16x32_fp8_fp8 v[100:103], a[76:77], v[252:253], v[100:103]// 0000000049EC: D3F30064 0D93F94C
	v_mfma_f32_16x16x32_fp8_fp8 v[100:103], a[78:79], v[254:255], v[100:103]// 0000000049F4: D3F30064 0D93FD4E
	ds_read_b128 v[196:199], v2 offset:64                      // 0000000049FC: D9FE0040 C4000002
	ds_read_b32 v16, v3 offset:8576                            // 000000004A04: D86C2180 10000003
	v_mfma_f32_16x16x32_fp8_fp8 v[104:107], a[88:89], v[232:233], 0// 000000004A0C: D3F30068 0A03D158
	v_mfma_f32_16x16x32_fp8_fp8 v[104:107], a[90:91], v[234:235], v[104:107]// 000000004A14: D3F30068 0DA3D55A
	buffer_load_dwordx4 a[24:27], v45, s[24:27], 0 offen offset:2048// 000000004A1C: E05C1800 8086182D
	v_mfma_f32_16x16x32_fp8_fp8 v[104:107], a[92:93], v[236:237], v[104:107]// 000000004A24: D3F30068 0DA3D95C
	v_mfma_f32_16x16x32_fp8_fp8 v[104:107], a[94:95], v[238:239], v[104:107]// 000000004A2C: D3F30068 0DA3DD5E
	ds_read_b128 v[200:203], v2 offset:128                     // 000000004A34: D9FE0080 C8000002
	ds_read_b32 v17, v3 offset:8832                            // 000000004A3C: D86C2280 11000003
	v_mfma_f32_16x16x32_fp8_fp8 v[108:111], a[88:89], v[248:249], 0// 000000004A44: D3F3006C 0A03F158
	v_mfma_f32_16x16x32_fp8_fp8 v[108:111], a[90:91], v[250:251], v[108:111]// 000000004A4C: D3F3006C 0DB3F55A
	buffer_load_dwordx4 a[28:31], v45, s[24:27], 0 offen offset:3072// 000000004A54: E05C1C00 80861C2D
	v_mfma_f32_16x16x32_fp8_fp8 v[108:111], a[92:93], v[252:253], v[108:111]// 000000004A5C: D3F3006C 0DB3F95C
	v_mfma_f32_16x16x32_fp8_fp8 v[108:111], a[94:95], v[254:255], v[108:111]// 000000004A64: D3F3006C 0DB3FD5E
	ds_read_b128 v[204:207], v2 offset:192                     // 000000004A6C: D9FE00C0 CC000002
	ds_read_b32 v18, v3 offset:9088                            // 000000004A74: D86C2380 12000003
	s_waitcnt vmcnt(13)                                        // 000000004A7C: BF8C0F7D
	v_mfma_f32_16x16x32_fp8_fp8 v[112:115], a[104:105], v[232:233], 0// 000000004A80: D3F30070 0A03D168
	v_mfma_f32_16x16x32_fp8_fp8 v[112:115], a[106:107], v[234:235], v[112:115]// 000000004A88: D3F30070 0DC3D56A
	buffer_load_dwordx4 a[40:43], v46, s[24:27], 0 offen offset:2048// 000000004A90: E05C1800 8086282E
	v_mfma_f32_16x16x32_fp8_fp8 v[112:115], a[108:109], v[236:237], v[112:115]// 000000004A98: D3F30070 0DC3D96C
	v_mfma_f32_16x16x32_fp8_fp8 v[112:115], a[110:111], v[238:239], v[112:115]// 000000004AA0: D3F30070 0DC3DD6E
	ds_read_b128 v[208:211], v2 offset:1024                    // 000000004AA8: D9FE0400 D0000002
	v_mfma_f32_16x16x32_fp8_fp8 v[116:119], a[104:105], v[248:249], 0// 000000004AB0: D3F30074 0A03F168
	v_mfma_f32_16x16x32_fp8_fp8 v[116:119], a[106:107], v[250:251], v[116:119]// 000000004AB8: D3F30074 0DD3F56A
	buffer_load_dwordx4 a[44:47], v46, s[24:27], 0 offen offset:3072// 000000004AC0: E05C1C00 80862C2E
	v_mfma_f32_16x16x32_fp8_fp8 v[116:119], a[108:109], v[252:253], v[116:119]// 000000004AC8: D3F30074 0DD3F96C
	v_mfma_f32_16x16x32_fp8_fp8 v[116:119], a[110:111], v[254:255], v[116:119]// 000000004AD0: D3F30074 0DD3FD6E
	ds_read_b128 v[212:215], v2 offset:1088                    // 000000004AD8: D9FE0440 D4000002
	v_mfma_f32_16x16x32_fp8_fp8 v[120:123], a[120:121], v[232:233], 0// 000000004AE0: D3F30078 0A03D178
	v_mfma_f32_16x16x32_fp8_fp8 v[120:123], a[122:123], v[234:235], v[120:123]// 000000004AE8: D3F30078 0DE3D57A
	buffer_load_dwordx4 a[56:59], v47, s[24:27], 0 offen offset:2048// 000000004AF0: E05C1800 8086382F
	v_mfma_f32_16x16x32_fp8_fp8 v[120:123], a[124:125], v[236:237], v[120:123]// 000000004AF8: D3F30078 0DE3D97C
	v_mfma_f32_16x16x32_fp8_fp8 v[120:123], a[126:127], v[238:239], v[120:123]// 000000004B00: D3F30078 0DE3DD7E
	ds_read_b128 v[216:219], v2 offset:1152                    // 000000004B08: D9FE0480 D8000002
	v_mfma_f32_16x16x32_fp8_fp8 v[124:127], a[120:121], v[248:249], 0// 000000004B10: D3F3007C 0A03F178
	v_mfma_f32_16x16x32_fp8_fp8 v[124:127], a[122:123], v[250:251], v[124:127]// 000000004B18: D3F3007C 0DF3F57A
	buffer_load_dwordx4 a[60:63], v47, s[24:27], 0 offen offset:3072// 000000004B20: E05C1C00 80863C2F
	v_mfma_f32_16x16x32_fp8_fp8 v[124:127], a[124:125], v[252:253], v[124:127]// 000000004B28: D3F3007C 0DF3F97C
	v_mfma_f32_16x16x32_fp8_fp8 v[124:127], a[126:127], v[254:255], v[124:127]// 000000004B30: D3F3007C 0DF3FD7E
	ds_read_b128 v[220:223], v2 offset:1216                    // 000000004B38: D9FE04C0 DC000002
	v_mul_f32_dpp v56, v24, v21 row_newbcast:2 row_mask:0xf bank_mask:0xf// 000000004B40: 0A702AFA FF015218
	v_mov_b32_e32 v57, v56                                     // 000000004B48: 7E720338
	v_pk_fma_f32 v[64:65], v[96:97], v[56:57], v[64:65]        // 000000004B4C: D3B04040 1D027160
	v_pk_fma_f32 v[66:67], v[98:99], v[56:57], v[66:67]        // 000000004B54: D3B04042 1D0A7162
	v_pk_fma_f32 v[72:73], v[104:105], v[56:57], v[72:73]      // 000000004B5C: D3B04048 1D227168
	v_pk_fma_f32 v[74:75], v[106:107], v[56:57], v[74:75]      // 000000004B64: D3B0404A 1D2A716A
	v_mul_f32_dpp v56, v24, v21 row_newbcast:3 row_mask:0xf bank_mask:0xf// 000000004B6C: 0A702AFA FF015318
	v_mov_b32_e32 v57, v56                                     // 000000004B74: 7E720338
	v_pk_fma_f32 v[80:81], v[112:113], v[56:57], v[80:81]      // 000000004B78: D3B04050 1D427170
	v_pk_fma_f32 v[82:83], v[114:115], v[56:57], v[82:83]      // 000000004B80: D3B04052 1D4A7172
	v_pk_fma_f32 v[88:89], v[120:121], v[56:57], v[88:89]      // 000000004B88: D3B04058 1D627178
	v_pk_fma_f32 v[90:91], v[122:123], v[56:57], v[90:91]      // 000000004B90: D3B0405A 1D6A717A
	v_mul_f32_dpp v56, v24, v22 row_newbcast:2 row_mask:0xf bank_mask:0xf// 000000004B98: 0A702CFA FF015218
	v_mov_b32_e32 v57, v56                                     // 000000004BA0: 7E720338
	v_pk_fma_f32 v[68:69], v[100:101], v[56:57], v[68:69]      // 000000004BA4: D3B04044 1D127164
	v_pk_fma_f32 v[70:71], v[102:103], v[56:57], v[70:71]      // 000000004BAC: D3B04046 1D1A7166
	v_pk_fma_f32 v[76:77], v[108:109], v[56:57], v[76:77]      // 000000004BB4: D3B0404C 1D32716C
	v_pk_fma_f32 v[78:79], v[110:111], v[56:57], v[78:79]      // 000000004BBC: D3B0404E 1D3A716E
	v_mul_f32_dpp v56, v24, v22 row_newbcast:3 row_mask:0xf bank_mask:0xf// 000000004BC4: 0A702CFA FF015318
	v_mov_b32_e32 v57, v56                                     // 000000004BCC: 7E720338
	v_pk_fma_f32 v[84:85], v[116:117], v[56:57], v[84:85]      // 000000004BD0: D3B04054 1D527174
	v_pk_fma_f32 v[86:87], v[118:119], v[56:57], v[86:87]      // 000000004BD8: D3B04056 1D5A7176
	v_pk_fma_f32 v[92:93], v[124:125], v[56:57], v[92:93]      // 000000004BE0: D3B0405C 1D72717C
	v_pk_fma_f32 v[94:95], v[126:127], v[56:57], v[94:95]      // 000000004BE8: D3B0405E 1D7A717E
	s_add_u32 s60, 0x200, s80                                  // 000000004BF0: 803C50FF 00000200
	s_cmp_lt_u32 s60, s81                                      // 000000004BF8: BF0A513C
	s_cselect_b32 s57, s57, 0                                  // 000000004BFC: 85398039
	s_cselect_b32 s3, s3, 0                                    // 000000004C00: 85038003
	s_add_u32 s60, 0x200, s80                                  // 000000004C04: 803C50FF 00000200
	s_cmp_lt_u32 s60, s81                                      // 000000004C0C: BF0A513C
	s_cselect_b32 s58, s58, 0                                  // 000000004C10: 853A803A
	s_add_u32 s20, s57, s20                                    // 000000004C14: 80141439
	s_addc_u32 s21, 0, s21                                     // 000000004C18: 82151580
	s_add_u32 s28, s3, s28                                     // 000000004C1C: 801C1C03
	s_addc_u32 s29, 0, s29                                     // 000000004C20: 821D1D80
	s_add_u32 s24, s58, s24                                    // 000000004C24: 8018183A
	s_addc_u32 s25, 0, s25                                     // 000000004C28: 82191980
	s_add_u32 s92, s90, s92                                    // 000000004C2C: 805C5C5A
	s_addc_u32 s93, 0, s93                                     // 000000004C30: 825D5D80
	s_addk_i32 s80, 0x100                                      // 000000004C34: B7500100
	s_cmp_lt_i32 s80, s81                                      // 000000004C38: BF045150
	s_cbranch_scc0 label_0791                                  // 000000004C3C: BF840001
	s_branch label_02F0                                        // 000000004C40: BF82FB5F

0000000000004c44 <label_0791>:
	s_mov_b32 s20, 0                                           // 000000004C44: BE940080
	s_cmp_lt_u32 s89, s66                                      // 000000004C48: BF0A4259
	s_cselect_b32 s60, 0, 1                                    // 000000004C4C: 853C8180
	s_lshl1_add_u32 s20, s20, s60                              // 000000004C50: 97143C14
	s_cmp_lt_u32 s88, s66                                      // 000000004C54: BF0A4258
	s_cselect_b32 s60, 0, 1                                    // 000000004C58: 853C8180
	s_lshl1_add_u32 s20, s20, s60                              // 000000004C5C: 97143C14
	s_cmp_lt_u32 s87, s66                                      // 000000004C60: BF0A4257
	s_cselect_b32 s60, 0, 1                                    // 000000004C64: 853C8180
	s_lshl1_add_u32 s20, s20, s60                              // 000000004C68: 97143C14
	s_cmp_lt_u32 s86, s66                                      // 000000004C6C: BF0A4256
	s_cselect_b32 s60, 0, 1                                    // 000000004C70: 853C8180
	s_lshl1_add_u32 s20, s20, s60                              // 000000004C74: 97143C14
	s_cmp_lt_u32 s85, s66                                      // 000000004C78: BF0A4255
	s_cselect_b32 s60, 0, 1                                    // 000000004C7C: 853C8180
	s_lshl1_add_u32 s20, s20, s60                              // 000000004C80: 97143C14
	s_cmp_lt_u32 s84, s66                                      // 000000004C84: BF0A4254
	s_cselect_b32 s60, 0, 1                                    // 000000004C88: 853C8180
	s_lshl1_add_u32 s20, s20, s60                              // 000000004C8C: 97143C14
	s_cmp_lt_u32 s83, s66                                      // 000000004C90: BF0A4253
	s_cselect_b32 s60, 0, 1                                    // 000000004C94: 853C8180
	s_lshl1_add_u32 s20, s20, s60                              // 000000004C98: 97143C14
	s_cmp_lt_u32 s82, s66                                      // 000000004C9C: BF0A4252
	s_cselect_b32 s60, 0, 1                                    // 000000004CA0: 853C8180
	s_lshl1_add_u32 s20, s20, s60                              // 000000004CA4: 97143C14
	s_waitcnt vmcnt(12)                                        // 000000004CA8: BF8C0F7C
	buffer_load_dwordx4 a[0:3], v48, s[12:15], 0 offen         // 000000004CAC: E05C1000 80830030
	v_mul_f32_e64 v56, -v128, s6                               // 000000004CB4: D1050038 20000D80
	v_mul_f32_e64 v57, -v129, s6                               // 000000004CBC: D1050039 20000D81
	v_mul_f32_e64 v58, -v130, s6                               // 000000004CC4: D105003A 20000D82
	v_mul_f32_e64 v59, -v131, s6                               // 000000004CCC: D105003B 20000D83
	v_exp_f32_e32 v56, v56                                     // 000000004CD4: 7E704138
	v_exp_f32_e32 v57, v57                                     // 000000004CD8: 7E724139
	v_exp_f32_e32 v58, v58                                     // 000000004CDC: 7E74413A
	v_exp_f32_e32 v59, v59                                     // 000000004CE0: 7E76413B
	buffer_load_dwordx4 a[4:7], v49, s[12:15], 0 offen         // 000000004CE4: E05C1000 80830431
	v_add_f32_e64 v56, v56, 1.0                                // 000000004CEC: D1010038 0001E538
	v_add_f32_e64 v57, v57, 1.0                                // 000000004CF4: D1010039 0001E539
	v_add_f32_e64 v58, v58, 1.0                                // 000000004CFC: D101003A 0001E53A
	v_add_f32_e64 v59, v59, 1.0                                // 000000004D04: D101003B 0001E53B
	v_rcp_f32_e32 v56, v56                                     // 000000004D0C: 7E704538
	v_rcp_f32_e32 v57, v57                                     // 000000004D10: 7E724539
	v_rcp_f32_e32 v58, v58                                     // 000000004D14: 7E74453A
	v_rcp_f32_e32 v59, v59                                     // 000000004D18: 7E76453B
	v_mul_f32_e32 v128, v128, v56                              // 000000004D1C: 0B007180
	v_mul_f32_e32 v129, v129, v57                              // 000000004D20: 0B027381
	v_mul_f32_e32 v130, v130, v58                              // 000000004D24: 0B047582
	v_mul_f32_e32 v131, v131, v59                              // 000000004D28: 0B067783
	v_mul_f32_e32 v128, v128, v64                              // 000000004D2C: 0B008180
	v_mul_f32_e32 v129, v129, v65                              // 000000004D30: 0B028381
	v_mul_f32_e32 v130, v130, v66                              // 000000004D34: 0B048582
	v_mul_f32_e32 v131, v131, v67                              // 000000004D38: 0B068783
	buffer_load_dwordx4 a[8:11], v50, s[12:15], 0 offen        // 000000004D3C: E05C1000 80830832
	v_mul_f32_e64 v56, -v132, s6                               // 000000004D44: D1050038 20000D84
	v_mul_f32_e64 v57, -v133, s6                               // 000000004D4C: D1050039 20000D85
	v_mul_f32_e64 v58, -v134, s6                               // 000000004D54: D105003A 20000D86
	v_mul_f32_e64 v59, -v135, s6                               // 000000004D5C: D105003B 20000D87
	v_exp_f32_e32 v56, v56                                     // 000000004D64: 7E704138
	v_exp_f32_e32 v57, v57                                     // 000000004D68: 7E724139
	v_exp_f32_e32 v58, v58                                     // 000000004D6C: 7E74413A
	v_exp_f32_e32 v59, v59                                     // 000000004D70: 7E76413B
	buffer_load_dwordx4 a[12:15], v51, s[12:15], 0 offen       // 000000004D74: E05C1000 80830C33
	s_add_u32 s12, s78, s12                                    // 000000004D7C: 800C0C4E
	s_addc_u32 s13, 0, s13                                     // 000000004D80: 820D0D80
	v_add_f32_e64 v56, v56, 1.0                                // 000000004D84: D1010038 0001E538
	v_add_f32_e64 v57, v57, 1.0                                // 000000004D8C: D1010039 0001E539
	v_add_f32_e64 v58, v58, 1.0                                // 000000004D94: D101003A 0001E53A
	v_add_f32_e64 v59, v59, 1.0                                // 000000004D9C: D101003B 0001E53B
	v_rcp_f32_e32 v56, v56                                     // 000000004DA4: 7E704538
	v_rcp_f32_e32 v57, v57                                     // 000000004DA8: 7E724539
	v_rcp_f32_e32 v58, v58                                     // 000000004DAC: 7E74453A
	v_rcp_f32_e32 v59, v59                                     // 000000004DB0: 7E76453B
	v_mul_f32_e32 v132, v132, v56                              // 000000004DB4: 0B087184
	v_mul_f32_e32 v133, v133, v57                              // 000000004DB8: 0B0A7385
	v_mul_f32_e32 v134, v134, v58                              // 000000004DBC: 0B0C7586
	v_mul_f32_e32 v135, v135, v59                              // 000000004DC0: 0B0E7787
	v_mul_f32_e32 v132, v132, v68                              // 000000004DC4: 0B088984
	v_mul_f32_e32 v133, v133, v69                              // 000000004DC8: 0B0A8B85
	v_mul_f32_e32 v134, v134, v70                              // 000000004DCC: 0B0C8D86
	v_mul_f32_e32 v135, v135, v71                              // 000000004DD0: 0B0E8F87
	s_waitcnt vmcnt(12)                                        // 000000004DD4: BF8C0F7C
	buffer_load_dwordx4 a[16:19], v48, s[12:15], 0 offen       // 000000004DD8: E05C1000 80831030
	v_mul_f32_e64 v56, -v136, s6                               // 000000004DE0: D1050038 20000D88
	v_mul_f32_e64 v57, -v137, s6                               // 000000004DE8: D1050039 20000D89
	v_mul_f32_e64 v58, -v138, s6                               // 000000004DF0: D105003A 20000D8A
	v_mul_f32_e64 v59, -v139, s6                               // 000000004DF8: D105003B 20000D8B
	v_exp_f32_e32 v56, v56                                     // 000000004E00: 7E704138
	v_exp_f32_e32 v57, v57                                     // 000000004E04: 7E724139
	v_exp_f32_e32 v58, v58                                     // 000000004E08: 7E74413A
	v_exp_f32_e32 v59, v59                                     // 000000004E0C: 7E76413B
	buffer_load_dwordx4 a[20:23], v49, s[12:15], 0 offen       // 000000004E10: E05C1000 80831431
	v_add_f32_e64 v56, v56, 1.0                                // 000000004E18: D1010038 0001E538
	v_add_f32_e64 v57, v57, 1.0                                // 000000004E20: D1010039 0001E539
	v_add_f32_e64 v58, v58, 1.0                                // 000000004E28: D101003A 0001E53A
	v_add_f32_e64 v59, v59, 1.0                                // 000000004E30: D101003B 0001E53B
	v_rcp_f32_e32 v56, v56                                     // 000000004E38: 7E704538
	v_rcp_f32_e32 v57, v57                                     // 000000004E3C: 7E724539
	v_rcp_f32_e32 v58, v58                                     // 000000004E40: 7E74453A
	v_rcp_f32_e32 v59, v59                                     // 000000004E44: 7E76453B
	v_mul_f32_e32 v136, v136, v56                              // 000000004E48: 0B107188
	v_mul_f32_e32 v137, v137, v57                              // 000000004E4C: 0B127389
	v_mul_f32_e32 v138, v138, v58                              // 000000004E50: 0B14758A
	v_mul_f32_e32 v139, v139, v59                              // 000000004E54: 0B16778B
	v_mul_f32_e32 v136, v136, v72                              // 000000004E58: 0B109188
	v_mul_f32_e32 v137, v137, v73                              // 000000004E5C: 0B129389
	v_mul_f32_e32 v138, v138, v74                              // 000000004E60: 0B14958A
	v_mul_f32_e32 v139, v139, v75                              // 000000004E64: 0B16978B
	buffer_load_dwordx4 a[24:27], v50, s[12:15], 0 offen       // 000000004E68: E05C1000 80831832
	v_mul_f32_e64 v56, -v140, s6                               // 000000004E70: D1050038 20000D8C
	v_mul_f32_e64 v57, -v141, s6                               // 000000004E78: D1050039 20000D8D
	v_mul_f32_e64 v58, -v142, s6                               // 000000004E80: D105003A 20000D8E
	v_mul_f32_e64 v59, -v143, s6                               // 000000004E88: D105003B 20000D8F
	v_exp_f32_e32 v56, v56                                     // 000000004E90: 7E704138
	v_exp_f32_e32 v57, v57                                     // 000000004E94: 7E724139
	v_exp_f32_e32 v58, v58                                     // 000000004E98: 7E74413A
	v_exp_f32_e32 v59, v59                                     // 000000004E9C: 7E76413B
	buffer_load_dwordx4 a[28:31], v51, s[12:15], 0 offen       // 000000004EA0: E05C1000 80831C33
	s_add_u32 s12, s78, s12                                    // 000000004EA8: 800C0C4E
	s_addc_u32 s13, 0, s13                                     // 000000004EAC: 820D0D80
	v_add_f32_e64 v56, v56, 1.0                                // 000000004EB0: D1010038 0001E538
	v_add_f32_e64 v57, v57, 1.0                                // 000000004EB8: D1010039 0001E539
	v_add_f32_e64 v58, v58, 1.0                                // 000000004EC0: D101003A 0001E53A
	v_add_f32_e64 v59, v59, 1.0                                // 000000004EC8: D101003B 0001E53B
	v_rcp_f32_e32 v56, v56                                     // 000000004ED0: 7E704538
	v_rcp_f32_e32 v57, v57                                     // 000000004ED4: 7E724539
	v_rcp_f32_e32 v58, v58                                     // 000000004ED8: 7E74453A
	v_rcp_f32_e32 v59, v59                                     // 000000004EDC: 7E76453B
	v_mul_f32_e32 v140, v140, v56                              // 000000004EE0: 0B18718C
	v_mul_f32_e32 v141, v141, v57                              // 000000004EE4: 0B1A738D
	v_mul_f32_e32 v142, v142, v58                              // 000000004EE8: 0B1C758E
	v_mul_f32_e32 v143, v143, v59                              // 000000004EEC: 0B1E778F
	v_mul_f32_e32 v140, v140, v76                              // 000000004EF0: 0B18998C
	v_mul_f32_e32 v141, v141, v77                              // 000000004EF4: 0B1A9B8D
	v_mul_f32_e32 v142, v142, v78                              // 000000004EF8: 0B1C9D8E
	v_mul_f32_e32 v143, v143, v79                              // 000000004EFC: 0B1E9F8F
	s_waitcnt vmcnt(12)                                        // 000000004F00: BF8C0F7C
	buffer_load_dwordx4 a[32:35], v48, s[12:15], 0 offen       // 000000004F04: E05C1000 80832030
	v_mul_f32_e64 v56, -v144, s6                               // 000000004F0C: D1050038 20000D90
	v_mul_f32_e64 v57, -v145, s6                               // 000000004F14: D1050039 20000D91
	v_mul_f32_e64 v58, -v146, s6                               // 000000004F1C: D105003A 20000D92
	v_mul_f32_e64 v59, -v147, s6                               // 000000004F24: D105003B 20000D93
	v_exp_f32_e32 v56, v56                                     // 000000004F2C: 7E704138
	v_exp_f32_e32 v57, v57                                     // 000000004F30: 7E724139
	v_exp_f32_e32 v58, v58                                     // 000000004F34: 7E74413A
	v_exp_f32_e32 v59, v59                                     // 000000004F38: 7E76413B
	buffer_load_dwordx4 a[36:39], v49, s[12:15], 0 offen       // 000000004F3C: E05C1000 80832431
	v_add_f32_e64 v56, v56, 1.0                                // 000000004F44: D1010038 0001E538
	v_add_f32_e64 v57, v57, 1.0                                // 000000004F4C: D1010039 0001E539
	v_add_f32_e64 v58, v58, 1.0                                // 000000004F54: D101003A 0001E53A
	v_add_f32_e64 v59, v59, 1.0                                // 000000004F5C: D101003B 0001E53B
	v_rcp_f32_e32 v56, v56                                     // 000000004F64: 7E704538
	v_rcp_f32_e32 v57, v57                                     // 000000004F68: 7E724539
	v_rcp_f32_e32 v58, v58                                     // 000000004F6C: 7E74453A
	v_rcp_f32_e32 v59, v59                                     // 000000004F70: 7E76453B
	v_mul_f32_e32 v144, v144, v56                              // 000000004F74: 0B207190
	v_mul_f32_e32 v145, v145, v57                              // 000000004F78: 0B227391
	v_mul_f32_e32 v146, v146, v58                              // 000000004F7C: 0B247592
	v_mul_f32_e32 v147, v147, v59                              // 000000004F80: 0B267793
	v_mul_f32_e32 v144, v144, v80                              // 000000004F84: 0B20A190
	v_mul_f32_e32 v145, v145, v81                              // 000000004F88: 0B22A391
	v_mul_f32_e32 v146, v146, v82                              // 000000004F8C: 0B24A592
	v_mul_f32_e32 v147, v147, v83                              // 000000004F90: 0B26A793
	buffer_load_dwordx4 a[40:43], v50, s[12:15], 0 offen       // 000000004F94: E05C1000 80832832
	v_mul_f32_e64 v56, -v148, s6                               // 000000004F9C: D1050038 20000D94
	v_mul_f32_e64 v57, -v149, s6                               // 000000004FA4: D1050039 20000D95
	v_mul_f32_e64 v58, -v150, s6                               // 000000004FAC: D105003A 20000D96
	v_mul_f32_e64 v59, -v151, s6                               // 000000004FB4: D105003B 20000D97
	v_exp_f32_e32 v56, v56                                     // 000000004FBC: 7E704138
	v_exp_f32_e32 v57, v57                                     // 000000004FC0: 7E724139
	v_exp_f32_e32 v58, v58                                     // 000000004FC4: 7E74413A
	v_exp_f32_e32 v59, v59                                     // 000000004FC8: 7E76413B
	buffer_load_dwordx4 a[44:47], v51, s[12:15], 0 offen       // 000000004FCC: E05C1000 80832C33
	s_add_u32 s12, s78, s12                                    // 000000004FD4: 800C0C4E
	s_addc_u32 s13, 0, s13                                     // 000000004FD8: 820D0D80
	v_add_f32_e64 v56, v56, 1.0                                // 000000004FDC: D1010038 0001E538
	v_add_f32_e64 v57, v57, 1.0                                // 000000004FE4: D1010039 0001E539
	v_add_f32_e64 v58, v58, 1.0                                // 000000004FEC: D101003A 0001E53A
	v_add_f32_e64 v59, v59, 1.0                                // 000000004FF4: D101003B 0001E53B
	v_rcp_f32_e32 v56, v56                                     // 000000004FFC: 7E704538
	v_rcp_f32_e32 v57, v57                                     // 000000005000: 7E724539
	v_rcp_f32_e32 v58, v58                                     // 000000005004: 7E74453A
	v_rcp_f32_e32 v59, v59                                     // 000000005008: 7E76453B
	v_mul_f32_e32 v148, v148, v56                              // 00000000500C: 0B287194
	v_mul_f32_e32 v149, v149, v57                              // 000000005010: 0B2A7395
	v_mul_f32_e32 v150, v150, v58                              // 000000005014: 0B2C7596
	v_mul_f32_e32 v151, v151, v59                              // 000000005018: 0B2E7797
	v_mul_f32_e32 v148, v148, v84                              // 00000000501C: 0B28A994
	v_mul_f32_e32 v149, v149, v85                              // 000000005020: 0B2AAB95
	v_mul_f32_e32 v150, v150, v86                              // 000000005024: 0B2CAD96
	v_mul_f32_e32 v151, v151, v87                              // 000000005028: 0B2EAF97
	s_waitcnt vmcnt(12)                                        // 00000000502C: BF8C0F7C
	buffer_load_dwordx4 a[48:51], v48, s[12:15], 0 offen       // 000000005030: E05C1000 80833030
	v_mul_f32_e64 v56, -v152, s6                               // 000000005038: D1050038 20000D98
	v_mul_f32_e64 v57, -v153, s6                               // 000000005040: D1050039 20000D99
	v_mul_f32_e64 v58, -v154, s6                               // 000000005048: D105003A 20000D9A
	v_mul_f32_e64 v59, -v155, s6                               // 000000005050: D105003B 20000D9B
	v_exp_f32_e32 v56, v56                                     // 000000005058: 7E704138
	v_exp_f32_e32 v57, v57                                     // 00000000505C: 7E724139
	v_exp_f32_e32 v58, v58                                     // 000000005060: 7E74413A
	v_exp_f32_e32 v59, v59                                     // 000000005064: 7E76413B
	buffer_load_dwordx4 a[52:55], v49, s[12:15], 0 offen       // 000000005068: E05C1000 80833431
	v_add_f32_e64 v56, v56, 1.0                                // 000000005070: D1010038 0001E538
	v_add_f32_e64 v57, v57, 1.0                                // 000000005078: D1010039 0001E539
	v_add_f32_e64 v58, v58, 1.0                                // 000000005080: D101003A 0001E53A
	v_add_f32_e64 v59, v59, 1.0                                // 000000005088: D101003B 0001E53B
	v_rcp_f32_e32 v56, v56                                     // 000000005090: 7E704538
	v_rcp_f32_e32 v57, v57                                     // 000000005094: 7E724539
	v_rcp_f32_e32 v58, v58                                     // 000000005098: 7E74453A
	v_rcp_f32_e32 v59, v59                                     // 00000000509C: 7E76453B
	v_mul_f32_e32 v152, v152, v56                              // 0000000050A0: 0B307198
	v_mul_f32_e32 v153, v153, v57                              // 0000000050A4: 0B327399
	v_mul_f32_e32 v154, v154, v58                              // 0000000050A8: 0B34759A
	v_mul_f32_e32 v155, v155, v59                              // 0000000050AC: 0B36779B
	v_mul_f32_e32 v152, v152, v88                              // 0000000050B0: 0B30B198
	v_mul_f32_e32 v153, v153, v89                              // 0000000050B4: 0B32B399
	v_mul_f32_e32 v154, v154, v90                              // 0000000050B8: 0B34B59A
	v_mul_f32_e32 v155, v155, v91                              // 0000000050BC: 0B36B79B
	buffer_load_dwordx4 a[56:59], v50, s[12:15], 0 offen       // 0000000050C0: E05C1000 80833832
	v_mul_f32_e64 v56, -v156, s6                               // 0000000050C8: D1050038 20000D9C
	v_mul_f32_e64 v57, -v157, s6                               // 0000000050D0: D1050039 20000D9D
	v_mul_f32_e64 v58, -v158, s6                               // 0000000050D8: D105003A 20000D9E
	v_mul_f32_e64 v59, -v159, s6                               // 0000000050E0: D105003B 20000D9F
	v_exp_f32_e32 v56, v56                                     // 0000000050E8: 7E704138
	v_exp_f32_e32 v57, v57                                     // 0000000050EC: 7E724139
	v_exp_f32_e32 v58, v58                                     // 0000000050F0: 7E74413A
	v_exp_f32_e32 v59, v59                                     // 0000000050F4: 7E76413B
	buffer_load_dwordx4 a[60:63], v51, s[12:15], 0 offen       // 0000000050F8: E05C1000 80833C33
	v_add_f32_e64 v56, v56, 1.0                                // 000000005100: D1010038 0001E538
	v_add_f32_e64 v57, v57, 1.0                                // 000000005108: D1010039 0001E539
	v_add_f32_e64 v58, v58, 1.0                                // 000000005110: D101003A 0001E53A
	v_add_f32_e64 v59, v59, 1.0                                // 000000005118: D101003B 0001E53B
	v_rcp_f32_e32 v56, v56                                     // 000000005120: 7E704538
	v_rcp_f32_e32 v57, v57                                     // 000000005124: 7E724539
	v_rcp_f32_e32 v58, v58                                     // 000000005128: 7E74453A
	v_rcp_f32_e32 v59, v59                                     // 00000000512C: 7E76453B
	v_mul_f32_e32 v156, v156, v56                              // 000000005130: 0B38719C
	v_mul_f32_e32 v157, v157, v57                              // 000000005134: 0B3A739D
	v_mul_f32_e32 v158, v158, v58                              // 000000005138: 0B3C759E
	v_mul_f32_e32 v159, v159, v59                              // 00000000513C: 0B3E779F
	v_mul_f32_e32 v156, v156, v92                              // 000000005140: 0B38B99C
	v_mul_f32_e32 v157, v157, v93                              // 000000005144: 0B3ABB9D
	v_mul_f32_e32 v158, v158, v94                              // 000000005148: 0B3CBD9E
	v_mul_f32_e32 v159, v159, v95                              // 00000000514C: 0B3EBF9F
	v_lshlrev_b32_e32 v56, 2, v0                               // 000000005150: 24700082
	s_mul_i32 s60, s82, s71                                    // 000000005154: 923C4752
	v_add_u32_e64 v80, v56, s60                                // 000000005158: D1340050 00007938
	v_mov_b32_e32 v81, 0                                       // 000000005160: 7EA20280
	s_mul_i32 s60, s83, s71                                    // 000000005164: 923C4753
	v_add_u32_e64 v82, v56, s60                                // 000000005168: D1340052 00007938
	v_mov_b32_e32 v83, 0                                       // 000000005170: 7EA60280
	s_mul_i32 s60, s84, s71                                    // 000000005174: 923C4754
	v_add_u32_e64 v84, v56, s60                                // 000000005178: D1340054 00007938
	v_mov_b32_e32 v85, 0                                       // 000000005180: 7EAA0280
	s_mul_i32 s60, s85, s71                                    // 000000005184: 923C4755
	v_add_u32_e64 v86, v56, s60                                // 000000005188: D1340056 00007938
	v_mov_b32_e32 v87, 0                                       // 000000005190: 7EAE0280
	s_mul_i32 s60, s86, s71                                    // 000000005194: 923C4756
	v_add_u32_e64 v88, v56, s60                                // 000000005198: D1340058 00007938
	v_mov_b32_e32 v89, 0                                       // 0000000051A0: 7EB20280
	s_mul_i32 s60, s87, s71                                    // 0000000051A4: 923C4757
	v_add_u32_e64 v90, v56, s60                                // 0000000051A8: D134005A 00007938
	v_mov_b32_e32 v91, 0                                       // 0000000051B0: 7EB60280
	s_mul_i32 s60, s88, s71                                    // 0000000051B4: 923C4758
	v_add_u32_e64 v92, v56, s60                                // 0000000051B8: D134005C 00007938
	v_mov_b32_e32 v93, 0                                       // 0000000051C0: 7EBA0280
	s_mul_i32 s60, s89, s71                                    // 0000000051C4: 923C4759
	v_add_u32_e64 v94, v56, s60                                // 0000000051C8: D134005E 00007938
	v_mov_b32_e32 v95, 0                                       // 0000000051D0: 7EBE0280
	buffer_load_dword v23, v6, s[16:19], 0 offen               // 0000000051D4: E0501000 80041706
	v_mov_b32_e32 v28, 0x358637bd                              // 0000000051DC: 7E3802FF 358637BD
	v_mov_b32_e32 v29, 0x358637bd                              // 0000000051E4: 7E3A02FF 358637BD
	v_max3_f32 v28, |v128|, |v129|, v28                        // 0000000051EC: D1D3031C 04730380
	v_max3_f32 v28, |v130|, |v131|, v28                        // 0000000051F4: D1D3031C 04730782
	v_max3_f32 v29, |v132|, |v133|, v29                        // 0000000051FC: D1D3031D 04770B84
	v_max3_f32 v29, |v134|, |v135|, v29                        // 000000005204: D1D3031D 04770F86
	v_max3_f32 v28, |v136|, |v137|, v28                        // 00000000520C: D1D3031C 04731388
	v_max3_f32 v28, |v138|, |v139|, v28                        // 000000005214: D1D3031C 0473178A
	v_max3_f32 v29, |v140|, |v141|, v29                        // 00000000521C: D1D3031D 04771B8C
	v_max3_f32 v29, |v142|, |v143|, v29                        // 000000005224: D1D3031D 04771F8E
	v_lshlrev_b32_e32 v56, 3, v0                               // 00000000522C: 24700083
	s_mul_i32 s60, 0x200, s7                                   // 000000005230: 923C07FF 00000200
	v_add_u32_e32 v56, s60, v56                                // 000000005238: 6870703C
	ds_write_b64 v56, v[28:29] offset:18688                    // 00000000523C: D89A4900 00001C38
	s_waitcnt lgkmcnt(0)                                       // 000000005244: BF8CC07F
	s_barrier                                                  // 000000005248: BF8A0000
	v_and_b32_e32 v56, 15, v0                                  // 00000000524C: 2670008F
	v_lshlrev_b32_e32 v56, 3, v56                              // 000000005250: 24707083
	ds_read_b64 v[96:97], v56 offset:18688                     // 000000005254: D8EC4900 60000038
	ds_read_b64 v[98:99], v56 offset:18816                     // 00000000525C: D8EC4980 62000038
	ds_read_b64 v[100:101], v56 offset:18944                   // 000000005264: D8EC4A00 64000038
	ds_read_b64 v[102:103], v56 offset:19072                   // 00000000526C: D8EC4A80 66000038
	ds_read_b64 v[104:105], v56 offset:19200                   // 000000005274: D8EC4B00 68000038
	ds_read_b64 v[106:107], v56 offset:19328                   // 00000000527C: D8EC4B80 6A000038
	ds_read_b64 v[108:109], v56 offset:19456                   // 000000005284: D8EC4C00 6C000038
	ds_read_b64 v[110:111], v56 offset:19584                   // 00000000528C: D8EC4C80 6E000038
	ds_read_b64 v[112:113], v56 offset:19712                   // 000000005294: D8EC4D00 70000038
	ds_read_b64 v[114:115], v56 offset:19840                   // 00000000529C: D8EC4D80 72000038
	ds_read_b64 v[116:117], v56 offset:19968                   // 0000000052A4: D8EC4E00 74000038
	ds_read_b64 v[118:119], v56 offset:20096                   // 0000000052AC: D8EC4E80 76000038
	ds_read_b64 v[120:121], v56 offset:20224                   // 0000000052B4: D8EC4F00 78000038
	ds_read_b64 v[122:123], v56 offset:20352                   // 0000000052BC: D8EC4F80 7A000038
	ds_read_b64 v[124:125], v56 offset:20480                   // 0000000052C4: D8EC5000 7C000038
	ds_read_b64 v[126:127], v56 offset:20608                   // 0000000052CC: D8EC5080 7E000038
	s_waitcnt lgkmcnt(0)                                       // 0000000052D4: BF8CC07F
	v_max3_f32 v28, |v96|, |v98|, v28                          // 0000000052D8: D1D3031C 0472C560
	v_max3_f32 v29, |v97|, |v99|, v29                          // 0000000052E0: D1D3031D 0476C761
	v_max3_f32 v28, |v100|, |v102|, v28                        // 0000000052E8: D1D3031C 0472CD64
	v_max3_f32 v29, |v101|, |v103|, v29                        // 0000000052F0: D1D3031D 0476CF65
	v_max3_f32 v28, |v104|, |v106|, v28                        // 0000000052F8: D1D3031C 0472D568
	v_max3_f32 v29, |v105|, |v107|, v29                        // 000000005300: D1D3031D 0476D769
	v_max3_f32 v28, |v108|, |v110|, v28                        // 000000005308: D1D3031C 0472DD6C
	v_max3_f32 v29, |v109|, |v111|, v29                        // 000000005310: D1D3031D 0476DF6D
	v_max3_f32 v28, |v112|, |v114|, v28                        // 000000005318: D1D3031C 0472E570
	v_max3_f32 v29, |v113|, |v115|, v29                        // 000000005320: D1D3031D 0476E771
	v_max3_f32 v28, |v116|, |v118|, v28                        // 000000005328: D1D3031C 0472ED74
	v_max3_f32 v29, |v117|, |v119|, v29                        // 000000005330: D1D3031D 0476EF75
	v_max3_f32 v28, |v120|, |v122|, v28                        // 000000005338: D1D3031C 0472F578
	v_max3_f32 v29, |v121|, |v123|, v29                        // 000000005340: D1D3031D 0476F779
	v_max3_f32 v28, |v124|, |v126|, v28                        // 000000005348: D1D3031C 0472FD7C
	v_max3_f32 v29, |v125|, |v127|, v29                        // 000000005350: D1D3031D 0476FF7D
	v_rcp_f32_e32 v28, v28                                     // 000000005358: 7E38451C
	v_rcp_f32_e32 v29, v29                                     // 00000000535C: 7E3A451D
	v_mov_b32_e32 v56, 0x43700000                              // 000000005360: 7E7002FF 43700000
	v_mul_f32_e32 v28, v56, v28                                // 000000005368: 0A383938
	v_mul_f32_e32 v29, v56, v29                                // 00000000536C: 0A3A3B38
	v_mul_f32_e32 v128, v28, v128                              // 000000005370: 0B01011C
	v_mul_f32_e32 v129, v28, v129                              // 000000005374: 0B03031C
	v_mul_f32_e32 v130, v28, v130                              // 000000005378: 0B05051C
	v_mul_f32_e32 v131, v28, v131                              // 00000000537C: 0B07071C
	v_cvt_pk_fp8_f32 v128, v128, v129                          // 000000005380: D2A20080 00030380
	v_cvt_pk_fp8_f32 v128, v130, v131 op_sel:[0,0,1]           // 000000005388: D2A24080 00030782
	v_mul_f32_e32 v132, v29, v132                              // 000000005390: 0B09091D
	v_mul_f32_e32 v133, v29, v133                              // 000000005394: 0B0B0B1D
	v_mul_f32_e32 v134, v29, v134                              // 000000005398: 0B0D0D1D
	v_mul_f32_e32 v135, v29, v135                              // 00000000539C: 0B0F0F1D
	v_cvt_pk_fp8_f32 v129, v132, v133                          // 0000000053A0: D2A20081 00030B84
	v_cvt_pk_fp8_f32 v129, v134, v135 op_sel:[0,0,1]           // 0000000053A8: D2A24081 00030F86
	v_mul_f32_e32 v136, v28, v136                              // 0000000053B0: 0B11111C
	v_mul_f32_e32 v137, v28, v137                              // 0000000053B4: 0B13131C
	v_mul_f32_e32 v138, v28, v138                              // 0000000053B8: 0B15151C
	v_mul_f32_e32 v139, v28, v139                              // 0000000053BC: 0B17171C
	v_cvt_pk_fp8_f32 v130, v136, v137                          // 0000000053C0: D2A20082 00031388
	v_cvt_pk_fp8_f32 v130, v138, v139 op_sel:[0,0,1]           // 0000000053C8: D2A24082 0003178A
	v_mul_f32_e32 v140, v29, v140                              // 0000000053D0: 0B19191D
	v_mul_f32_e32 v141, v29, v141                              // 0000000053D4: 0B1B1B1D
	v_mul_f32_e32 v142, v29, v142                              // 0000000053D8: 0B1D1D1D
	v_mul_f32_e32 v143, v29, v143                              // 0000000053DC: 0B1F1F1D
	v_cvt_pk_fp8_f32 v131, v140, v141                          // 0000000053E0: D2A20083 00031B8C
	v_cvt_pk_fp8_f32 v131, v142, v143 op_sel:[0,0,1]           // 0000000053E8: D2A24083 00031F8E
	v_rcp_f32_e32 v32, v28                                     // 0000000053F0: 7E40451C
	v_rcp_f32_e32 v33, v29                                     // 0000000053F4: 7E42451D
	v_mov_b32_e32 v30, 0x358637bd                              // 0000000053F8: 7E3C02FF 358637BD
	v_mov_b32_e32 v31, 0x358637bd                              // 000000005400: 7E3E02FF 358637BD
	v_max3_f32 v30, |v144|, |v145|, v30                        // 000000005408: D1D3031E 047B2390
	v_max3_f32 v30, |v146|, |v147|, v30                        // 000000005410: D1D3031E 047B2792
	v_max3_f32 v31, |v148|, |v149|, v31                        // 000000005418: D1D3031F 047F2B94
	v_max3_f32 v31, |v150|, |v151|, v31                        // 000000005420: D1D3031F 047F2F96
	v_max3_f32 v30, |v152|, |v153|, v30                        // 000000005428: D1D3031E 047B3398
	v_max3_f32 v30, |v154|, |v155|, v30                        // 000000005430: D1D3031E 047B379A
	v_max3_f32 v31, |v156|, |v157|, v31                        // 000000005438: D1D3031F 047F3B9C
	v_max3_f32 v31, |v158|, |v159|, v31                        // 000000005440: D1D3031F 047F3F9E
	v_lshlrev_b32_e32 v56, 3, v0                               // 000000005448: 24700083
	s_mul_i32 s60, 0x200, s7                                   // 00000000544C: 923C07FF 00000200
	v_add_u32_e32 v56, s60, v56                                // 000000005454: 6870703C
	ds_write_b64 v56, v[30:31] offset:18688                    // 000000005458: D89A4900 00001E38
	s_waitcnt lgkmcnt(0)                                       // 000000005460: BF8CC07F
	s_barrier                                                  // 000000005464: BF8A0000
	v_and_b32_e32 v56, 15, v0                                  // 000000005468: 2670008F
	v_lshlrev_b32_e32 v56, 3, v56                              // 00000000546C: 24707083
	ds_read_b64 v[96:97], v56 offset:18688                     // 000000005470: D8EC4900 60000038
	ds_read_b64 v[98:99], v56 offset:18816                     // 000000005478: D8EC4980 62000038
	ds_read_b64 v[100:101], v56 offset:18944                   // 000000005480: D8EC4A00 64000038
	ds_read_b64 v[102:103], v56 offset:19072                   // 000000005488: D8EC4A80 66000038
	ds_read_b64 v[104:105], v56 offset:19200                   // 000000005490: D8EC4B00 68000038
	ds_read_b64 v[106:107], v56 offset:19328                   // 000000005498: D8EC4B80 6A000038
	ds_read_b64 v[108:109], v56 offset:19456                   // 0000000054A0: D8EC4C00 6C000038
	ds_read_b64 v[110:111], v56 offset:19584                   // 0000000054A8: D8EC4C80 6E000038
	ds_read_b64 v[112:113], v56 offset:19712                   // 0000000054B0: D8EC4D00 70000038
	ds_read_b64 v[114:115], v56 offset:19840                   // 0000000054B8: D8EC4D80 72000038
	ds_read_b64 v[116:117], v56 offset:19968                   // 0000000054C0: D8EC4E00 74000038
	ds_read_b64 v[118:119], v56 offset:20096                   // 0000000054C8: D8EC4E80 76000038
	ds_read_b64 v[120:121], v56 offset:20224                   // 0000000054D0: D8EC4F00 78000038
	ds_read_b64 v[122:123], v56 offset:20352                   // 0000000054D8: D8EC4F80 7A000038
	ds_read_b64 v[124:125], v56 offset:20480                   // 0000000054E0: D8EC5000 7C000038
	ds_read_b64 v[126:127], v56 offset:20608                   // 0000000054E8: D8EC5080 7E000038
	s_waitcnt lgkmcnt(0)                                       // 0000000054F0: BF8CC07F
	v_max3_f32 v30, |v96|, |v98|, v30                          // 0000000054F4: D1D3031E 047AC560
	v_max3_f32 v31, |v97|, |v99|, v31                          // 0000000054FC: D1D3031F 047EC761
	v_max3_f32 v30, |v100|, |v102|, v30                        // 000000005504: D1D3031E 047ACD64
	v_max3_f32 v31, |v101|, |v103|, v31                        // 00000000550C: D1D3031F 047ECF65
	v_max3_f32 v30, |v104|, |v106|, v30                        // 000000005514: D1D3031E 047AD568
	v_max3_f32 v31, |v105|, |v107|, v31                        // 00000000551C: D1D3031F 047ED769
	v_max3_f32 v30, |v108|, |v110|, v30                        // 000000005524: D1D3031E 047ADD6C
	v_max3_f32 v31, |v109|, |v111|, v31                        // 00000000552C: D1D3031F 047EDF6D
	v_max3_f32 v30, |v112|, |v114|, v30                        // 000000005534: D1D3031E 047AE570
	v_max3_f32 v31, |v113|, |v115|, v31                        // 00000000553C: D1D3031F 047EE771
	v_max3_f32 v30, |v116|, |v118|, v30                        // 000000005544: D1D3031E 047AED74
	v_max3_f32 v31, |v117|, |v119|, v31                        // 00000000554C: D1D3031F 047EEF75
	v_max3_f32 v30, |v120|, |v122|, v30                        // 000000005554: D1D3031E 047AF578
	v_max3_f32 v31, |v121|, |v123|, v31                        // 00000000555C: D1D3031F 047EF779
	v_max3_f32 v30, |v124|, |v126|, v30                        // 000000005564: D1D3031E 047AFD7C
	v_max3_f32 v31, |v125|, |v127|, v31                        // 00000000556C: D1D3031F 047EFF7D
	v_rcp_f32_e32 v30, v30                                     // 000000005574: 7E3C451E
	v_rcp_f32_e32 v31, v31                                     // 000000005578: 7E3E451F
	v_mov_b32_e32 v56, 0x43700000                              // 00000000557C: 7E7002FF 43700000
	v_mul_f32_e32 v30, v56, v30                                // 000000005584: 0A3C3D38
	v_mul_f32_e32 v31, v56, v31                                // 000000005588: 0A3E3F38
	v_mul_f32_e32 v144, v30, v144                              // 00000000558C: 0B21211E
	v_mul_f32_e32 v145, v30, v145                              // 000000005590: 0B23231E
	v_mul_f32_e32 v146, v30, v146                              // 000000005594: 0B25251E
	v_mul_f32_e32 v147, v30, v147                              // 000000005598: 0B27271E
	v_cvt_pk_fp8_f32 v132, v144, v145                          // 00000000559C: D2A20084 00032390
	v_cvt_pk_fp8_f32 v132, v146, v147 op_sel:[0,0,1]           // 0000000055A4: D2A24084 00032792
	v_mul_f32_e32 v148, v31, v148                              // 0000000055AC: 0B29291F
	v_mul_f32_e32 v149, v31, v149                              // 0000000055B0: 0B2B2B1F
	v_mul_f32_e32 v150, v31, v150                              // 0000000055B4: 0B2D2D1F
	v_mul_f32_e32 v151, v31, v151                              // 0000000055B8: 0B2F2F1F
	v_cvt_pk_fp8_f32 v133, v148, v149                          // 0000000055BC: D2A20085 00032B94
	v_cvt_pk_fp8_f32 v133, v150, v151 op_sel:[0,0,1]           // 0000000055C4: D2A24085 00032F96
	v_mul_f32_e32 v152, v30, v152                              // 0000000055CC: 0B31311E
	v_mul_f32_e32 v153, v30, v153                              // 0000000055D0: 0B33331E
	v_mul_f32_e32 v154, v30, v154                              // 0000000055D4: 0B35351E
	v_mul_f32_e32 v155, v30, v155                              // 0000000055D8: 0B37371E
	v_cvt_pk_fp8_f32 v134, v152, v153                          // 0000000055DC: D2A20086 00033398
	v_cvt_pk_fp8_f32 v134, v154, v155 op_sel:[0,0,1]           // 0000000055E4: D2A24086 0003379A
	v_mul_f32_e32 v156, v31, v156                              // 0000000055EC: 0B39391F
	v_mul_f32_e32 v157, v31, v157                              // 0000000055F0: 0B3B3B1F
	v_mul_f32_e32 v158, v31, v158                              // 0000000055F4: 0B3D3D1F
	v_mul_f32_e32 v159, v31, v159                              // 0000000055F8: 0B3F3F1F
	v_cvt_pk_fp8_f32 v135, v156, v157                          // 0000000055FC: D2A20087 00033B9C
	v_cvt_pk_fp8_f32 v135, v158, v159 op_sel:[0,0,1]           // 000000005604: D2A24087 00033F9E
	v_rcp_f32_e32 v34, v30                                     // 00000000560C: 7E44451E
	v_rcp_f32_e32 v35, v31                                     // 000000005610: 7E46451F
	v_lshrrev_b32_e32 v56, 5, v0                               // 000000005614: 20700085
	v_lshlrev_b32_e32 v57, 5, v56                              // 000000005618: 24727085
	v_and_b32_e32 v56, 31, v0                                  // 00000000561C: 2670009F
	v_lshrrev_b32_e32 v58, 4, v56                              // 000000005620: 20747084
	v_add_u32_e32 v57, v58, v57                                // 000000005624: 6872733A
	v_and_b32_e32 v56, 15, v0                                  // 000000005628: 2670008F
	v_lshlrev_b32_e32 v56, 1, v56                              // 00000000562C: 24707081
	v_add_u32_e32 v57, v56, v57                                // 000000005630: 68727338
	v_lshlrev_b32_e32 v56, 2, v57                              // 000000005634: 24707282
	s_mul_i32 s60, 0x100, s7                                   // 000000005638: 923C07FF 00000100
	v_add_u32_e64 v56, v56, s60                                // 000000005640: D1340038 00007938
	ds_write_b32 v56, v128 offset:20736                        // 000000005648: D81A5100 00008038
	ds_write_b32 v56, v129 offset:24832                        // 000000005650: D81A6100 00008138
	ds_write_b32 v56, v130 offset:21760                        // 000000005658: D81A5500 00008238
	ds_write_b32 v56, v131 offset:25856                        // 000000005660: D81A6500 00008338
	ds_write_b32 v56, v132 offset:22784                        // 000000005668: D81A5900 00008438
	ds_write_b32 v56, v133 offset:26880                        // 000000005670: D81A6900 00008538
	ds_write_b32 v56, v134 offset:23808                        // 000000005678: D81A5D00 00008638
	ds_write_b32 v56, v135 offset:27904                        // 000000005680: D81A6D00 00008738
	s_waitcnt lgkmcnt(0)                                       // 000000005688: BF8CC07F
	s_barrier                                                  // 00000000568C: BF8A0000
	v_lshrrev_b32_e32 v56, 4, v0                               // 000000005690: 20700084
	v_lshlrev_b32_e32 v57, 6, v56                              // 000000005694: 24727086
	v_and_b32_e32 v56, 15, v0                                  // 000000005698: 2670008F
	v_lshlrev_b32_e32 v56, 1, v56                              // 00000000569C: 24707081
	v_add_u32_e32 v57, v56, v57                                // 0000000056A0: 68727338
	v_lshlrev_b32_e32 v56, 2, v57                              // 0000000056A4: 24707282
	ds_read_b64 v[128:129], v56 offset:20736                   // 0000000056A8: D8EC5100 80000038
	ds_read_b64 v[130:131], v56 offset:20864                   // 0000000056B0: D8EC5180 82000038
	ds_read_b64 v[132:133], v56 offset:21760                   // 0000000056B8: D8EC5500 84000038
	ds_read_b64 v[134:135], v56 offset:21888                   // 0000000056C0: D8EC5580 86000038
	ds_read_b64 v[136:137], v56 offset:22784                   // 0000000056C8: D8EC5900 88000038
	ds_read_b64 v[138:139], v56 offset:22912                   // 0000000056D0: D8EC5980 8A000038
	ds_read_b64 v[140:141], v56 offset:23808                   // 0000000056D8: D8EC5D00 8C000038
	ds_read_b64 v[142:143], v56 offset:23936                   // 0000000056E0: D8EC5D80 8E000038
	ds_read_b64 v[144:145], v56 offset:24832                   // 0000000056E8: D8EC6100 90000038
	ds_read_b64 v[146:147], v56 offset:24960                   // 0000000056F0: D8EC6180 92000038
	ds_read_b64 v[148:149], v56 offset:25856                   // 0000000056F8: D8EC6500 94000038
	ds_read_b64 v[150:151], v56 offset:25984                   // 000000005700: D8EC6580 96000038
	ds_read_b64 v[152:153], v56 offset:26880                   // 000000005708: D8EC6900 98000038
	ds_read_b64 v[154:155], v56 offset:27008                   // 000000005710: D8EC6980 9A000038
	ds_read_b64 v[156:157], v56 offset:27904                   // 000000005718: D8EC6D00 9C000038
	ds_read_b64 v[158:159], v56 offset:28032                   // 000000005720: D8EC6D80 9E000038
	s_add_u32 s12, s56, s12                                    // 000000005728: 800C0C38
	s_addc_u32 s13, 0, s13                                     // 00000000572C: 820D0D80
	s_add_u32 s16, s79, s16                                    // 000000005730: 8010104F
	s_addc_u32 s17, 0, s17                                     // 000000005734: 82111180
	s_waitcnt lgkmcnt(0)                                       // 000000005738: BF8CC07F
	s_barrier                                                  // 00000000573C: BF8A0000
	v_mov_b32_e32 v192, 0                                      // 000000005740: 7F800280
	v_mov_b32_e32 v224, 0                                      // 000000005744: 7FC00280
	v_mov_b32_e32 v193, 0                                      // 000000005748: 7F820280
	v_mov_b32_e32 v225, 0                                      // 00000000574C: 7FC20280
	v_mov_b32_e32 v194, 0                                      // 000000005750: 7F840280
	v_mov_b32_e32 v226, 0                                      // 000000005754: 7FC40280
	v_mov_b32_e32 v195, 0                                      // 000000005758: 7F860280
	v_mov_b32_e32 v227, 0                                      // 00000000575C: 7FC60280
	v_mov_b32_e32 v196, 0                                      // 000000005760: 7F880280
	v_mov_b32_e32 v228, 0                                      // 000000005764: 7FC80280
	v_mov_b32_e32 v197, 0                                      // 000000005768: 7F8A0280
	v_mov_b32_e32 v229, 0                                      // 00000000576C: 7FCA0280
	v_mov_b32_e32 v198, 0                                      // 000000005770: 7F8C0280
	v_mov_b32_e32 v230, 0                                      // 000000005774: 7FCC0280
	v_mov_b32_e32 v199, 0                                      // 000000005778: 7F8E0280
	v_mov_b32_e32 v231, 0                                      // 00000000577C: 7FCE0280
	v_mov_b32_e32 v200, 0                                      // 000000005780: 7F900280
	v_mov_b32_e32 v232, 0                                      // 000000005784: 7FD00280
	v_mov_b32_e32 v201, 0                                      // 000000005788: 7F920280
	v_mov_b32_e32 v233, 0                                      // 00000000578C: 7FD20280
	v_mov_b32_e32 v202, 0                                      // 000000005790: 7F940280
	v_mov_b32_e32 v234, 0                                      // 000000005794: 7FD40280
	v_mov_b32_e32 v203, 0                                      // 000000005798: 7F960280
	v_mov_b32_e32 v235, 0                                      // 00000000579C: 7FD60280
	v_mov_b32_e32 v204, 0                                      // 0000000057A0: 7F980280
	v_mov_b32_e32 v236, 0                                      // 0000000057A4: 7FD80280
	v_mov_b32_e32 v205, 0                                      // 0000000057A8: 7F9A0280
	v_mov_b32_e32 v237, 0                                      // 0000000057AC: 7FDA0280
	v_mov_b32_e32 v206, 0                                      // 0000000057B0: 7F9C0280
	v_mov_b32_e32 v238, 0                                      // 0000000057B4: 7FDC0280
	v_mov_b32_e32 v207, 0                                      // 0000000057B8: 7F9E0280
	v_mov_b32_e32 v239, 0                                      // 0000000057BC: 7FDE0280
	ds_write_b64 v4, v[192:193] offset:20736                   // 0000000057C0: D89A5100 0000C004
	ds_write_b64 v4, v[194:195] offset:29440                   // 0000000057C8: D89A7300 0000C204
	ds_write_b64 v4, v[196:197] offset:22912                   // 0000000057D0: D89A5980 0000C404
	ds_write_b64 v4, v[198:199] offset:31616                   // 0000000057D8: D89A7B80 0000C604
	ds_write_b64 v4, v[200:201] offset:25088                   // 0000000057E0: D89A6200 0000C804
	ds_write_b64 v4, v[202:203] offset:33792                   // 0000000057E8: D89A8400 0000CA04
	ds_write_b64 v4, v[204:205] offset:27264                   // 0000000057F0: D89A6A80 0000CC04
	ds_write_b64 v4, v[206:207] offset:35968                   // 0000000057F8: D89A8C80 0000CE04
	s_mov_b32 s80, 0                                           // 000000005800: BED00080
	s_waitcnt vmcnt(0) expcnt(0) lgkmcnt(0)                    // 000000005804: BF8C0000

0000000000005808 <label_0A82>:
	s_waitcnt vmcnt(12) lgkmcnt(0)                             // 000000005808: BF8C007C
	s_barrier                                                  // 00000000580C: BF8A0000
	v_mfma_f32_16x16x32_fp8_fp8 v[192:195], a[0:1], v[128:129], 0// 000000005810: D3F300C0 0A030100
	ds_read_b32 v64, v5 offset:20736                           // 000000005818: D86C5100 40000005
	ds_read_b32 v65, v5 offset:25088                           // 000000005820: D86C6200 41000005
	v_mfma_f32_16x16x32_fp8_fp8 v[192:195], a[2:3], v[130:131], v[192:195]// 000000005828: D3F300C0 0F030502
	buffer_load_dwordx4 a[64:67], v48, s[12:15], 0 offen       // 000000005830: E05C1000 80834030
	v_mfma_f32_16x16x32_fp8_fp8 v[196:199], a[0:1], v[144:145], 0// 000000005838: D3F300C4 0A032100
	ds_read_b32 v66, v5 offset:20768                           // 000000005840: D86C5120 42000005
	ds_read_b32 v67, v5 offset:25120                           // 000000005848: D86C6220 43000005
	v_mfma_f32_16x16x32_fp8_fp8 v[196:199], a[2:3], v[146:147], v[196:199]// 000000005850: D3F300C4 0F132502
	buffer_load_dword v24, v6, s[16:19], 0 offen               // 000000005858: E0501000 80041806
	v_mfma_f32_16x16x32_fp8_fp8 v[200:203], a[4:5], v[128:129], 0// 000000005860: D3F300C8 0A030104
	ds_read_b32 v68, v5 offset:20800                           // 000000005868: D86C5140 44000005
	ds_read_b32 v69, v5 offset:25152                           // 000000005870: D86C6240 45000005
	v_mfma_f32_16x16x32_fp8_fp8 v[200:203], a[6:7], v[130:131], v[200:203]// 000000005878: D3F300C8 0F230506
	buffer_load_dwordx4 a[68:71], v49, s[12:15], 0 offen       // 000000005880: E05C1000 80834431
	v_mfma_f32_16x16x32_fp8_fp8 v[204:207], a[4:5], v[144:145], 0// 000000005888: D3F300CC 0A032104
	ds_read_b32 v70, v5 offset:20832                           // 000000005890: D86C5160 46000005
	ds_read_b32 v71, v5 offset:25184                           // 000000005898: D86C6260 47000005
	v_mfma_f32_16x16x32_fp8_fp8 v[204:207], a[6:7], v[146:147], v[204:207]// 0000000058A0: D3F300CC 0F332506
	v_mfma_f32_16x16x32_fp8_fp8 v[208:211], a[8:9], v[128:129], 0// 0000000058A8: D3F300D0 0A030108
	ds_read_b32 v72, v5 offset:29440                           // 0000000058B0: D86C7300 48000005
	ds_read_b32 v73, v5 offset:33792                           // 0000000058B8: D86C8400 49000005
	v_mfma_f32_16x16x32_fp8_fp8 v[208:211], a[10:11], v[130:131], v[208:211]// 0000000058C0: D3F300D0 0F43050A
	buffer_load_dwordx4 a[72:75], v50, s[12:15], 0 offen       // 0000000058C8: E05C1000 80834832
	v_mfma_f32_16x16x32_fp8_fp8 v[212:215], a[8:9], v[144:145], 0// 0000000058D0: D3F300D4 0A032108
	ds_read_b32 v74, v5 offset:29472                           // 0000000058D8: D86C7320 4A000005
	ds_read_b32 v75, v5 offset:33824                           // 0000000058E0: D86C8420 4B000005
	v_mfma_f32_16x16x32_fp8_fp8 v[212:215], a[10:11], v[146:147], v[212:215]// 0000000058E8: D3F300D4 0F53250A
	v_mfma_f32_16x16x32_fp8_fp8 v[216:219], a[12:13], v[128:129], 0// 0000000058F0: D3F300D8 0A03010C
	ds_read_b32 v76, v5 offset:29504                           // 0000000058F8: D86C7340 4C000005
	ds_read_b32 v77, v5 offset:33856                           // 000000005900: D86C8440 4D000005
	v_mfma_f32_16x16x32_fp8_fp8 v[216:219], a[14:15], v[130:131], v[216:219]// 000000005908: D3F300D8 0F63050E
	buffer_load_dwordx4 a[76:79], v51, s[12:15], 0 offen       // 000000005910: E05C1000 80834C33
	s_add_u32 s12, s78, s12                                    // 000000005918: 800C0C4E
	s_addc_u32 s13, 0, s13                                     // 00000000591C: 820D0D80
	v_mfma_f32_16x16x32_fp8_fp8 v[220:223], a[12:13], v[144:145], 0// 000000005920: D3F300DC 0A03210C
	ds_read_b32 v78, v5 offset:29536                           // 000000005928: D86C7360 4E000005
	ds_read_b32 v79, v5 offset:33888                           // 000000005930: D86C8460 4F000005
	v_mfma_f32_16x16x32_fp8_fp8 v[220:223], a[14:15], v[146:147], v[220:223]// 000000005938: D3F300DC 0F73250E
	s_waitcnt vmcnt(13)                                        // 000000005940: BF8C0F7D
	v_mfma_f32_16x16x32_fp8_fp8 v[192:195], a[16:17], v[132:133], v[192:195]// 000000005944: D3F300C0 0F030910
	v_mfma_f32_16x16x32_fp8_fp8 v[192:195], a[18:19], v[134:135], v[192:195]// 00000000594C: D3F300C0 0F030D12
	buffer_load_dwordx4 a[80:83], v48, s[12:15], 0 offen       // 000000005954: E05C1000 80835030
	v_mfma_f32_16x16x32_fp8_fp8 v[196:199], a[16:17], v[148:149], v[196:199]// 00000000595C: D3F300C4 0F132910
	v_mfma_f32_16x16x32_fp8_fp8 v[196:199], a[18:19], v[150:151], v[196:199]// 000000005964: D3F300C4 0F132D12
	v_mfma_f32_16x16x32_fp8_fp8 v[200:203], a[20:21], v[132:133], v[200:203]// 00000000596C: D3F300C8 0F230914
	v_mfma_f32_16x16x32_fp8_fp8 v[200:203], a[22:23], v[134:135], v[200:203]// 000000005974: D3F300C8 0F230D16
	buffer_load_dwordx4 a[84:87], v49, s[12:15], 0 offen       // 00000000597C: E05C1000 80835431
	v_mfma_f32_16x16x32_fp8_fp8 v[204:207], a[20:21], v[148:149], v[204:207]// 000000005984: D3F300CC 0F332914
	v_mfma_f32_16x16x32_fp8_fp8 v[204:207], a[22:23], v[150:151], v[204:207]// 00000000598C: D3F300CC 0F332D16
	v_mfma_f32_16x16x32_fp8_fp8 v[208:211], a[24:25], v[132:133], v[208:211]// 000000005994: D3F300D0 0F430918
	v_mfma_f32_16x16x32_fp8_fp8 v[208:211], a[26:27], v[134:135], v[208:211]// 00000000599C: D3F300D0 0F430D1A
	buffer_load_dwordx4 a[88:91], v50, s[12:15], 0 offen       // 0000000059A4: E05C1000 80835832
	v_mfma_f32_16x16x32_fp8_fp8 v[212:215], a[24:25], v[148:149], v[212:215]// 0000000059AC: D3F300D4 0F532918
	v_mfma_f32_16x16x32_fp8_fp8 v[212:215], a[26:27], v[150:151], v[212:215]// 0000000059B4: D3F300D4 0F532D1A
	v_mfma_f32_16x16x32_fp8_fp8 v[216:219], a[28:29], v[132:133], v[216:219]// 0000000059BC: D3F300D8 0F63091C
	v_mfma_f32_16x16x32_fp8_fp8 v[216:219], a[30:31], v[134:135], v[216:219]// 0000000059C4: D3F300D8 0F630D1E
	buffer_load_dwordx4 a[92:95], v51, s[12:15], 0 offen       // 0000000059CC: E05C1000 80835C33
	s_add_u32 s12, s78, s12                                    // 0000000059D4: 800C0C4E
	s_addc_u32 s13, 0, s13                                     // 0000000059D8: 820D0D80
	v_mfma_f32_16x16x32_fp8_fp8 v[220:223], a[28:29], v[148:149], v[220:223]// 0000000059DC: D3F300DC 0F73291C
	v_mfma_f32_16x16x32_fp8_fp8 v[220:223], a[30:31], v[150:151], v[220:223]// 0000000059E4: D3F300DC 0F732D1E
	v_mul_f32_dpp v56, v23, v32 row_newbcast:0 row_mask:0xf bank_mask:0xf// 0000000059EC: 0A7040FA FF015017
	v_mov_b32_e32 v57, v56                                     // 0000000059F4: 7E720338
	v_pk_mul_f32 v[192:193], v[56:57], v[192:193]              // 0000000059F8: D3B140C0 18038138
	v_pk_mul_f32 v[194:195], v[56:57], v[194:195]              // 000000005A00: D3B140C2 18038538
	v_pk_mul_f32 v[200:201], v[56:57], v[200:201]              // 000000005A08: D3B140C8 18039138
	v_pk_mul_f32 v[202:203], v[56:57], v[202:203]              // 000000005A10: D3B140CA 18039538
	v_mul_f32_dpp v56, v23, v32 row_newbcast:1 row_mask:0xf bank_mask:0xf// 000000005A18: 0A7040FA FF015117
	v_mov_b32_e32 v57, v56                                     // 000000005A20: 7E720338
	v_pk_mul_f32 v[208:209], v[56:57], v[208:209]              // 000000005A24: D3B140D0 1803A138
	v_pk_mul_f32 v[210:211], v[56:57], v[210:211]              // 000000005A2C: D3B140D2 1803A538
	v_pk_mul_f32 v[216:217], v[56:57], v[216:217]              // 000000005A34: D3B140D8 1803B138
	v_pk_mul_f32 v[218:219], v[56:57], v[218:219]              // 000000005A3C: D3B140DA 1803B538
	v_mul_f32_dpp v56, v23, v33 row_newbcast:0 row_mask:0xf bank_mask:0xf// 000000005A44: 0A7042FA FF015017
	v_mov_b32_e32 v57, v56                                     // 000000005A4C: 7E720338
	v_pk_mul_f32 v[196:197], v[56:57], v[196:197]              // 000000005A50: D3B140C4 18038938
	v_pk_mul_f32 v[198:199], v[56:57], v[198:199]              // 000000005A58: D3B140C6 18038D38
	v_pk_mul_f32 v[204:205], v[56:57], v[204:205]              // 000000005A60: D3B140CC 18039938
	v_pk_mul_f32 v[206:207], v[56:57], v[206:207]              // 000000005A68: D3B140CE 18039D38
	v_mul_f32_dpp v56, v23, v33 row_newbcast:1 row_mask:0xf bank_mask:0xf// 000000005A70: 0A7042FA FF015117
	v_mov_b32_e32 v57, v56                                     // 000000005A78: 7E720338
	v_pk_mul_f32 v[212:213], v[56:57], v[212:213]              // 000000005A7C: D3B140D4 1803A938
	v_pk_mul_f32 v[214:215], v[56:57], v[214:215]              // 000000005A84: D3B140D6 1803AD38
	v_pk_mul_f32 v[220:221], v[56:57], v[220:221]              // 000000005A8C: D3B140DC 1803B938
	v_pk_mul_f32 v[222:223], v[56:57], v[222:223]              // 000000005A94: D3B140DE 1803BD38
	s_waitcnt vmcnt(13)                                        // 000000005A9C: BF8C0F7D
	v_mfma_f32_16x16x32_fp8_fp8 v[160:163], a[32:33], v[136:137], 0// 000000005AA0: D3F300A0 0A031120
	ds_write_b64 v4, v[224:225] offset:38144                   // 000000005AA8: D89A9500 0000E004
	v_mfma_f32_16x16x32_fp8_fp8 v[160:163], a[34:35], v[138:139], v[160:163]// 000000005AB0: D3F300A0 0E831522
	buffer_load_dwordx4 a[96:99], v48, s[12:15], 0 offen       // 000000005AB8: E05C1000 80836030
	v_mfma_f32_16x16x32_fp8_fp8 v[164:167], a[32:33], v[152:153], 0// 000000005AC0: D3F300A4 0A033120
	ds_write_b64 v4, v[226:227] offset:46848                   // 000000005AC8: D89AB700 0000E204
	v_mfma_f32_16x16x32_fp8_fp8 v[164:167], a[34:35], v[154:155], v[164:167]// 000000005AD0: D3F300A4 0E933522
	v_mfma_f32_16x16x32_fp8_fp8 v[168:171], a[36:37], v[136:137], 0// 000000005AD8: D3F300A8 0A031124
	ds_write_b64 v4, v[228:229] offset:40320                   // 000000005AE0: D89A9D80 0000E404
	v_mfma_f32_16x16x32_fp8_fp8 v[168:171], a[38:39], v[138:139], v[168:171]// 000000005AE8: D3F300A8 0EA31526
	buffer_load_dwordx4 a[100:103], v49, s[12:15], 0 offen     // 000000005AF0: E05C1000 80836431
	v_mfma_f32_16x16x32_fp8_fp8 v[172:175], a[36:37], v[152:153], 0// 000000005AF8: D3F300AC 0A033124
	ds_write_b64 v4, v[230:231] offset:49024                   // 000000005B00: D89ABF80 0000E604
	v_mfma_f32_16x16x32_fp8_fp8 v[172:175], a[38:39], v[154:155], v[172:175]// 000000005B08: D3F300AC 0EB33526
	v_mfma_f32_16x16x32_fp8_fp8 v[176:179], a[40:41], v[136:137], 0// 000000005B10: D3F300B0 0A031128
	ds_write_b64 v4, v[232:233] offset:42496                   // 000000005B18: D89AA600 0000E804
	v_mfma_f32_16x16x32_fp8_fp8 v[176:179], a[42:43], v[138:139], v[176:179]// 000000005B20: D3F300B0 0EC3152A
	buffer_load_dwordx4 a[104:107], v50, s[12:15], 0 offen     // 000000005B28: E05C1000 80836832
	v_mfma_f32_16x16x32_fp8_fp8 v[180:183], a[40:41], v[152:153], 0// 000000005B30: D3F300B4 0A033128
	ds_write_b64 v4, v[234:235] offset:51200                   // 000000005B38: D89AC800 0000EA04
	v_mfma_f32_16x16x32_fp8_fp8 v[180:183], a[42:43], v[154:155], v[180:183]// 000000005B40: D3F300B4 0ED3352A
	v_mfma_f32_16x16x32_fp8_fp8 v[184:187], a[44:45], v[136:137], 0// 000000005B48: D3F300B8 0A03112C
	ds_write_b64 v4, v[236:237] offset:44672                   // 000000005B50: D89AAE80 0000EC04
	v_mfma_f32_16x16x32_fp8_fp8 v[184:187], a[46:47], v[138:139], v[184:187]// 000000005B58: D3F300B8 0EE3152E
	buffer_load_dwordx4 a[108:111], v51, s[12:15], 0 offen     // 000000005B60: E05C1000 80836C33
	s_add_u32 s12, s78, s12                                    // 000000005B68: 800C0C4E
	s_addc_u32 s13, 0, s13                                     // 000000005B6C: 820D0D80
	v_mfma_f32_16x16x32_fp8_fp8 v[188:191], a[44:45], v[152:153], 0// 000000005B70: D3F300BC 0A03312C
	ds_write_b64 v4, v[238:239] offset:53376                   // 000000005B78: D89AD080 0000EE04
	v_mfma_f32_16x16x32_fp8_fp8 v[188:191], a[46:47], v[154:155], v[188:191]// 000000005B80: D3F300BC 0EF3352E
	s_waitcnt vmcnt(13)                                        // 000000005B88: BF8C0F7D
	v_mfma_f32_16x16x32_fp8_fp8 v[160:163], a[48:49], v[140:141], v[160:163]// 000000005B8C: D3F300A0 0E831930
	v_mfma_f32_16x16x32_fp8_fp8 v[160:163], a[50:51], v[142:143], v[160:163]// 000000005B94: D3F300A0 0E831D32
	buffer_load_dwordx4 a[112:115], v48, s[12:15], 0 offen     // 000000005B9C: E05C1000 80837030
	v_mfma_f32_16x16x32_fp8_fp8 v[164:167], a[48:49], v[156:157], v[164:167]// 000000005BA4: D3F300A4 0E933930
	v_mfma_f32_16x16x32_fp8_fp8 v[164:167], a[50:51], v[158:159], v[164:167]// 000000005BAC: D3F300A4 0E933D32
	v_mfma_f32_16x16x32_fp8_fp8 v[168:171], a[52:53], v[140:141], v[168:171]// 000000005BB4: D3F300A8 0EA31934
	v_mfma_f32_16x16x32_fp8_fp8 v[168:171], a[54:55], v[142:143], v[168:171]// 000000005BBC: D3F300A8 0EA31D36
	buffer_load_dwordx4 a[116:119], v49, s[12:15], 0 offen     // 000000005BC4: E05C1000 80837431
	v_mfma_f32_16x16x32_fp8_fp8 v[172:175], a[52:53], v[156:157], v[172:175]// 000000005BCC: D3F300AC 0EB33934
	v_mfma_f32_16x16x32_fp8_fp8 v[172:175], a[54:55], v[158:159], v[172:175]// 000000005BD4: D3F300AC 0EB33D36
	v_mfma_f32_16x16x32_fp8_fp8 v[176:179], a[56:57], v[140:141], v[176:179]// 000000005BDC: D3F300B0 0EC31938
	v_mfma_f32_16x16x32_fp8_fp8 v[176:179], a[58:59], v[142:143], v[176:179]// 000000005BE4: D3F300B0 0EC31D3A
	buffer_load_dwordx4 a[120:123], v50, s[12:15], 0 offen     // 000000005BEC: E05C1000 80837832
	v_mfma_f32_16x16x32_fp8_fp8 v[180:183], a[56:57], v[156:157], v[180:183]// 000000005BF4: D3F300B4 0ED33938
	v_mfma_f32_16x16x32_fp8_fp8 v[180:183], a[58:59], v[158:159], v[180:183]// 000000005BFC: D3F300B4 0ED33D3A
	v_mfma_f32_16x16x32_fp8_fp8 v[184:187], a[60:61], v[140:141], v[184:187]// 000000005C04: D3F300B8 0EE3193C
	v_mfma_f32_16x16x32_fp8_fp8 v[184:187], a[62:63], v[142:143], v[184:187]// 000000005C0C: D3F300B8 0EE31D3E
	buffer_load_dwordx4 a[124:127], v51, s[12:15], 0 offen     // 000000005C14: E05C1000 80837C33
	v_mfma_f32_16x16x32_fp8_fp8 v[188:191], a[60:61], v[156:157], v[188:191]// 000000005C1C: D3F300BC 0EF3393C
	v_mfma_f32_16x16x32_fp8_fp8 v[188:191], a[62:63], v[158:159], v[188:191]// 000000005C24: D3F300BC 0EF33D3E
	v_mul_f32_dpp v56, v23, v34 row_newbcast:2 row_mask:0xf bank_mask:0xf// 000000005C2C: 0A7044FA FF015217
	v_mov_b32_e32 v57, v56                                     // 000000005C34: 7E720338
	v_pk_fma_f32 v[192:193], v[160:161], v[56:57], v[192:193]  // 000000005C38: D3B040C0 1F0271A0
	v_pk_fma_f32 v[194:195], v[162:163], v[56:57], v[194:195]  // 000000005C40: D3B040C2 1F0A71A2
	v_pk_fma_f32 v[200:201], v[168:169], v[56:57], v[200:201]  // 000000005C48: D3B040C8 1F2271A8
	v_pk_fma_f32 v[202:203], v[170:171], v[56:57], v[202:203]  // 000000005C50: D3B040CA 1F2A71AA
	v_mul_f32_dpp v56, v23, v34 row_newbcast:3 row_mask:0xf bank_mask:0xf// 000000005C58: 0A7044FA FF015317
	v_mov_b32_e32 v57, v56                                     // 000000005C60: 7E720338
	v_pk_fma_f32 v[208:209], v[176:177], v[56:57], v[208:209]  // 000000005C64: D3B040D0 1F4271B0
	v_pk_fma_f32 v[210:211], v[178:179], v[56:57], v[210:211]  // 000000005C6C: D3B040D2 1F4A71B2
	v_pk_fma_f32 v[216:217], v[184:185], v[56:57], v[216:217]  // 000000005C74: D3B040D8 1F6271B8
	v_pk_fma_f32 v[218:219], v[186:187], v[56:57], v[218:219]  // 000000005C7C: D3B040DA 1F6A71BA
	v_mul_f32_dpp v56, v23, v35 row_newbcast:2 row_mask:0xf bank_mask:0xf// 000000005C84: 0A7046FA FF015217
	v_mov_b32_e32 v57, v56                                     // 000000005C8C: 7E720338
	v_pk_fma_f32 v[196:197], v[164:165], v[56:57], v[196:197]  // 000000005C90: D3B040C4 1F1271A4
	v_pk_fma_f32 v[198:199], v[166:167], v[56:57], v[198:199]  // 000000005C98: D3B040C6 1F1A71A6
	v_pk_fma_f32 v[204:205], v[172:173], v[56:57], v[204:205]  // 000000005CA0: D3B040CC 1F3271AC
	v_pk_fma_f32 v[206:207], v[174:175], v[56:57], v[206:207]  // 000000005CA8: D3B040CE 1F3A71AE
	v_mul_f32_dpp v56, v23, v35 row_newbcast:3 row_mask:0xf bank_mask:0xf// 000000005CB0: 0A7046FA FF015317
	v_mov_b32_e32 v57, v56                                     // 000000005CB8: 7E720338
	v_pk_fma_f32 v[212:213], v[180:181], v[56:57], v[212:213]  // 000000005CBC: D3B040D4 1F5271B4
	v_pk_fma_f32 v[214:215], v[182:183], v[56:57], v[214:215]  // 000000005CC4: D3B040D6 1F5A71B6
	v_pk_fma_f32 v[220:221], v[188:189], v[56:57], v[220:221]  // 000000005CCC: D3B040DC 1F7271BC
	v_pk_fma_f32 v[222:223], v[190:191], v[56:57], v[222:223]  // 000000005CD4: D3B040DE 1F7A71BE
	s_add_u32 s60, 0x200, s80                                  // 000000005CDC: 803C50FF 00000200
	s_cmp_lt_u32 s60, s81                                      // 000000005CE4: BF0A513C
	s_cselect_b32 s56, s56, 0                                  // 000000005CE8: 85388038
	s_cselect_b32 s78, s78, 0                                  // 000000005CEC: 854E804E
	s_cselect_b32 s79, s79, 0                                  // 000000005CF0: 854F804F
	s_add_u32 s12, s56, s12                                    // 000000005CF4: 800C0C38
	s_addc_u32 s13, 0, s13                                     // 000000005CF8: 820D0D80
	s_add_u32 s16, s79, s16                                    // 000000005CFC: 8010104F
	s_addc_u32 s17, 0, s17                                     // 000000005D00: 82111180
	v_mov_b32_e32 v56, v25                                     // 000000005D04: 7E700319
	v_mov_b32_e32 v57, v25                                     // 000000005D08: 7E720319
	v_pk_mul_f32 v[192:193], v[56:57], v[192:193]              // 000000005D0C: D3B140C0 18038138
	v_pk_mul_f32 v[194:195], v[56:57], v[194:195]              // 000000005D14: D3B140C2 18038538
	v_pk_mul_f32 v[200:201], v[56:57], v[200:201]              // 000000005D1C: D3B140C8 18039138
	v_pk_mul_f32 v[202:203], v[56:57], v[202:203]              // 000000005D24: D3B140CA 18039538
	v_pk_mul_f32 v[208:209], v[56:57], v[208:209]              // 000000005D2C: D3B140D0 1803A138
	v_pk_mul_f32 v[210:211], v[56:57], v[210:211]              // 000000005D34: D3B140D2 1803A538
	v_pk_mul_f32 v[216:217], v[56:57], v[216:217]              // 000000005D3C: D3B140D8 1803B138
	v_pk_mul_f32 v[218:219], v[56:57], v[218:219]              // 000000005D44: D3B140DA 1803B538
	v_mov_b32_e32 v56, v26                                     // 000000005D4C: 7E70031A
	v_mov_b32_e32 v57, v26                                     // 000000005D50: 7E72031A
	v_pk_mul_f32 v[196:197], v[56:57], v[196:197]              // 000000005D54: D3B140C4 18038938
	v_pk_mul_f32 v[198:199], v[56:57], v[198:199]              // 000000005D5C: D3B140C6 18038D38
	v_pk_mul_f32 v[204:205], v[56:57], v[204:205]              // 000000005D64: D3B140CC 18039938
	v_pk_mul_f32 v[206:207], v[56:57], v[206:207]              // 000000005D6C: D3B140CE 18039D38
	v_pk_mul_f32 v[212:213], v[56:57], v[212:213]              // 000000005D74: D3B140D4 1803A938
	v_pk_mul_f32 v[214:215], v[56:57], v[214:215]              // 000000005D7C: D3B140D6 1803AD38
	v_pk_mul_f32 v[220:221], v[56:57], v[220:221]              // 000000005D84: D3B140DC 1803B938
	v_pk_mul_f32 v[222:223], v[56:57], v[222:223]              // 000000005D8C: D3B140DE 1803BD38
	v_cmp_u_f32_e64 s[48:49], v192, v192                       // 000000005D94: D0480030 000381C0
	v_add3_u32 v52, v192, v55, 1                               // 000000005D9C: D1FF0034 02066FC0
	v_cndmask_b32_e64 v56, v52, v54, s[48:49]                  // 000000005DA4: D1000038 00C26D34
	v_cmp_u_f32_e64 s[48:49], v193, v193                       // 000000005DAC: D0480030 000383C1
	v_add3_u32 v52, v193, v55, 1                               // 000000005DB4: D1FF0034 02066FC1
	v_cndmask_b32_e64 v57, v52, v54, s[48:49]                  // 000000005DBC: D1000039 00C26D34
	v_perm_b32 v192, v57, v56, s52                             // 000000005DC4: D1ED00C0 00D27139
	v_cmp_u_f32_e64 s[48:49], v194, v194                       // 000000005DCC: D0480030 000385C2
	v_add3_u32 v52, v194, v55, 1                               // 000000005DD4: D1FF0034 02066FC2
	v_cndmask_b32_e64 v56, v52, v54, s[48:49]                  // 000000005DDC: D1000038 00C26D34
	v_cmp_u_f32_e64 s[48:49], v195, v195                       // 000000005DE4: D0480030 000387C3
	v_add3_u32 v52, v195, v55, 1                               // 000000005DEC: D1FF0034 02066FC3
	v_cndmask_b32_e64 v57, v52, v54, s[48:49]                  // 000000005DF4: D1000039 00C26D34
	v_perm_b32 v193, v57, v56, s52                             // 000000005DFC: D1ED00C1 00D27139
	v_cmp_u_f32_e64 s[48:49], v196, v196                       // 000000005E04: D0480030 000389C4
	v_add3_u32 v52, v196, v55, 1                               // 000000005E0C: D1FF0034 02066FC4
	v_cndmask_b32_e64 v56, v52, v54, s[48:49]                  // 000000005E14: D1000038 00C26D34
	v_cmp_u_f32_e64 s[48:49], v197, v197                       // 000000005E1C: D0480030 00038BC5
	v_add3_u32 v52, v197, v55, 1                               // 000000005E24: D1FF0034 02066FC5
	v_cndmask_b32_e64 v57, v52, v54, s[48:49]                  // 000000005E2C: D1000039 00C26D34
	v_perm_b32 v194, v57, v56, s52                             // 000000005E34: D1ED00C2 00D27139
	v_cmp_u_f32_e64 s[48:49], v198, v198                       // 000000005E3C: D0480030 00038DC6
	v_add3_u32 v52, v198, v55, 1                               // 000000005E44: D1FF0034 02066FC6
	v_cndmask_b32_e64 v56, v52, v54, s[48:49]                  // 000000005E4C: D1000038 00C26D34
	v_cmp_u_f32_e64 s[48:49], v199, v199                       // 000000005E54: D0480030 00038FC7
	v_add3_u32 v52, v199, v55, 1                               // 000000005E5C: D1FF0034 02066FC7
	v_cndmask_b32_e64 v57, v52, v54, s[48:49]                  // 000000005E64: D1000039 00C26D34
	v_perm_b32 v195, v57, v56, s52                             // 000000005E6C: D1ED00C3 00D27139
	v_cmp_u_f32_e64 s[48:49], v200, v200                       // 000000005E74: D0480030 000391C8
	v_add3_u32 v52, v200, v55, 1                               // 000000005E7C: D1FF0034 02066FC8
	v_cndmask_b32_e64 v56, v52, v54, s[48:49]                  // 000000005E84: D1000038 00C26D34
	v_cmp_u_f32_e64 s[48:49], v201, v201                       // 000000005E8C: D0480030 000393C9
	v_add3_u32 v52, v201, v55, 1                               // 000000005E94: D1FF0034 02066FC9
	v_cndmask_b32_e64 v57, v52, v54, s[48:49]                  // 000000005E9C: D1000039 00C26D34
	v_perm_b32 v196, v57, v56, s52                             // 000000005EA4: D1ED00C4 00D27139
	v_cmp_u_f32_e64 s[48:49], v202, v202                       // 000000005EAC: D0480030 000395CA
	v_add3_u32 v52, v202, v55, 1                               // 000000005EB4: D1FF0034 02066FCA
	v_cndmask_b32_e64 v56, v52, v54, s[48:49]                  // 000000005EBC: D1000038 00C26D34
	v_cmp_u_f32_e64 s[48:49], v203, v203                       // 000000005EC4: D0480030 000397CB
	v_add3_u32 v52, v203, v55, 1                               // 000000005ECC: D1FF0034 02066FCB
	v_cndmask_b32_e64 v57, v52, v54, s[48:49]                  // 000000005ED4: D1000039 00C26D34
	v_perm_b32 v197, v57, v56, s52                             // 000000005EDC: D1ED00C5 00D27139
	v_cmp_u_f32_e64 s[48:49], v204, v204                       // 000000005EE4: D0480030 000399CC
	v_add3_u32 v52, v204, v55, 1                               // 000000005EEC: D1FF0034 02066FCC
	v_cndmask_b32_e64 v56, v52, v54, s[48:49]                  // 000000005EF4: D1000038 00C26D34
	v_cmp_u_f32_e64 s[48:49], v205, v205                       // 000000005EFC: D0480030 00039BCD
	v_add3_u32 v52, v205, v55, 1                               // 000000005F04: D1FF0034 02066FCD
	v_cndmask_b32_e64 v57, v52, v54, s[48:49]                  // 000000005F0C: D1000039 00C26D34
	v_perm_b32 v198, v57, v56, s52                             // 000000005F14: D1ED00C6 00D27139
	v_cmp_u_f32_e64 s[48:49], v206, v206                       // 000000005F1C: D0480030 00039DCE
	v_add3_u32 v52, v206, v55, 1                               // 000000005F24: D1FF0034 02066FCE
	v_cndmask_b32_e64 v56, v52, v54, s[48:49]                  // 000000005F2C: D1000038 00C26D34
	v_cmp_u_f32_e64 s[48:49], v207, v207                       // 000000005F34: D0480030 00039FCF
	v_add3_u32 v52, v207, v55, 1                               // 000000005F3C: D1FF0034 02066FCF
	v_cndmask_b32_e64 v57, v52, v54, s[48:49]                  // 000000005F44: D1000039 00C26D34
	v_perm_b32 v199, v57, v56, s52                             // 000000005F4C: D1ED00C7 00D27139
	v_cmp_u_f32_e64 s[48:49], v208, v208                       // 000000005F54: D0480030 0003A1D0
	v_add3_u32 v52, v208, v55, 1                               // 000000005F5C: D1FF0034 02066FD0
	v_cndmask_b32_e64 v56, v52, v54, s[48:49]                  // 000000005F64: D1000038 00C26D34
	v_cmp_u_f32_e64 s[48:49], v209, v209                       // 000000005F6C: D0480030 0003A3D1
	v_add3_u32 v52, v209, v55, 1                               // 000000005F74: D1FF0034 02066FD1
	v_cndmask_b32_e64 v57, v52, v54, s[48:49]                  // 000000005F7C: D1000039 00C26D34
	v_perm_b32 v200, v57, v56, s52                             // 000000005F84: D1ED00C8 00D27139
	v_cmp_u_f32_e64 s[48:49], v210, v210                       // 000000005F8C: D0480030 0003A5D2
	v_add3_u32 v52, v210, v55, 1                               // 000000005F94: D1FF0034 02066FD2
	v_cndmask_b32_e64 v56, v52, v54, s[48:49]                  // 000000005F9C: D1000038 00C26D34
	v_cmp_u_f32_e64 s[48:49], v211, v211                       // 000000005FA4: D0480030 0003A7D3
	v_add3_u32 v52, v211, v55, 1                               // 000000005FAC: D1FF0034 02066FD3
	v_cndmask_b32_e64 v57, v52, v54, s[48:49]                  // 000000005FB4: D1000039 00C26D34
	v_perm_b32 v201, v57, v56, s52                             // 000000005FBC: D1ED00C9 00D27139
	v_cmp_u_f32_e64 s[48:49], v212, v212                       // 000000005FC4: D0480030 0003A9D4
	v_add3_u32 v52, v212, v55, 1                               // 000000005FCC: D1FF0034 02066FD4
	v_cndmask_b32_e64 v56, v52, v54, s[48:49]                  // 000000005FD4: D1000038 00C26D34
	v_cmp_u_f32_e64 s[48:49], v213, v213                       // 000000005FDC: D0480030 0003ABD5
	v_add3_u32 v52, v213, v55, 1                               // 000000005FE4: D1FF0034 02066FD5
	v_cndmask_b32_e64 v57, v52, v54, s[48:49]                  // 000000005FEC: D1000039 00C26D34
	v_perm_b32 v202, v57, v56, s52                             // 000000005FF4: D1ED00CA 00D27139
	v_cmp_u_f32_e64 s[48:49], v214, v214                       // 000000005FFC: D0480030 0003ADD6
	v_add3_u32 v52, v214, v55, 1                               // 000000006004: D1FF0034 02066FD6
	v_cndmask_b32_e64 v56, v52, v54, s[48:49]                  // 00000000600C: D1000038 00C26D34
	v_cmp_u_f32_e64 s[48:49], v215, v215                       // 000000006014: D0480030 0003AFD7
	v_add3_u32 v52, v215, v55, 1                               // 00000000601C: D1FF0034 02066FD7
	v_cndmask_b32_e64 v57, v52, v54, s[48:49]                  // 000000006024: D1000039 00C26D34
	v_perm_b32 v203, v57, v56, s52                             // 00000000602C: D1ED00CB 00D27139
	v_cmp_u_f32_e64 s[48:49], v216, v216                       // 000000006034: D0480030 0003B1D8
	v_add3_u32 v52, v216, v55, 1                               // 00000000603C: D1FF0034 02066FD8
	v_cndmask_b32_e64 v56, v52, v54, s[48:49]                  // 000000006044: D1000038 00C26D34
	v_cmp_u_f32_e64 s[48:49], v217, v217                       // 00000000604C: D0480030 0003B3D9
	v_add3_u32 v52, v217, v55, 1                               // 000000006054: D1FF0034 02066FD9
	v_cndmask_b32_e64 v57, v52, v54, s[48:49]                  // 00000000605C: D1000039 00C26D34
	v_perm_b32 v204, v57, v56, s52                             // 000000006064: D1ED00CC 00D27139
	v_cmp_u_f32_e64 s[48:49], v218, v218                       // 00000000606C: D0480030 0003B5DA
	v_add3_u32 v52, v218, v55, 1                               // 000000006074: D1FF0034 02066FDA
	v_cndmask_b32_e64 v56, v52, v54, s[48:49]                  // 00000000607C: D1000038 00C26D34
	v_cmp_u_f32_e64 s[48:49], v219, v219                       // 000000006084: D0480030 0003B7DB
	v_add3_u32 v52, v219, v55, 1                               // 00000000608C: D1FF0034 02066FDB
	v_cndmask_b32_e64 v57, v52, v54, s[48:49]                  // 000000006094: D1000039 00C26D34
	v_perm_b32 v205, v57, v56, s52                             // 00000000609C: D1ED00CD 00D27139
	v_cmp_u_f32_e64 s[48:49], v220, v220                       // 0000000060A4: D0480030 0003B9DC
	v_add3_u32 v52, v220, v55, 1                               // 0000000060AC: D1FF0034 02066FDC
	v_cndmask_b32_e64 v56, v52, v54, s[48:49]                  // 0000000060B4: D1000038 00C26D34
	v_cmp_u_f32_e64 s[48:49], v221, v221                       // 0000000060BC: D0480030 0003BBDD
	v_add3_u32 v52, v221, v55, 1                               // 0000000060C4: D1FF0034 02066FDD
	v_cndmask_b32_e64 v57, v52, v54, s[48:49]                  // 0000000060CC: D1000039 00C26D34
	v_perm_b32 v206, v57, v56, s52                             // 0000000060D4: D1ED00CE 00D27139
	v_cmp_u_f32_e64 s[48:49], v222, v222                       // 0000000060DC: D0480030 0003BDDE
	v_add3_u32 v52, v222, v55, 1                               // 0000000060E4: D1FF0034 02066FDE
	v_cndmask_b32_e64 v56, v52, v54, s[48:49]                  // 0000000060EC: D1000038 00C26D34
	v_cmp_u_f32_e64 s[48:49], v223, v223                       // 0000000060F4: D0480030 0003BFDF
	v_add3_u32 v52, v223, v55, 1                               // 0000000060FC: D1FF0034 02066FDF
	v_cndmask_b32_e64 v57, v52, v54, s[48:49]                  // 000000006104: D1000039 00C26D34
	v_perm_b32 v207, v57, v56, s52                             // 00000000610C: D1ED00CF 00D27139
	s_cmp_ge_u32 s80, 0x200                                    // 000000006114: BF09FF50 00000200
	s_cselect_b32 s59, 0x200, s59                              // 00000000611C: 853B3BFF 00000200
	s_setvskip s20, 0                                          // 000000006124: BF108014
	global_atomic_pk_add_bf16 v80, v64, s[8:9]                 // 000000006128: DD488000 00084050
	s_setvskip 0, 0                                            // 000000006130: BF108080
	s_setvskip s20, 0                                          // 000000006134: BF108014
	global_atomic_pk_add_bf16 v80, v65, s[8:9] offset:256      // 000000006138: DD488100 00084150
	s_setvskip 0, 0                                            // 000000006140: BF108080
	s_setvskip s20, 1                                          // 000000006144: BF108114
	global_atomic_pk_add_bf16 v82, v66, s[8:9]                 // 000000006148: DD488000 00084252
	s_setvskip 0, 0                                            // 000000006150: BF108080
	s_setvskip s20, 1                                          // 000000006154: BF108114
	global_atomic_pk_add_bf16 v82, v67, s[8:9] offset:256      // 000000006158: DD488100 00084352
	s_setvskip 0, 0                                            // 000000006160: BF108080
	s_setvskip s20, 2                                          // 000000006164: BF108214
	global_atomic_pk_add_bf16 v84, v68, s[8:9]                 // 000000006168: DD488000 00084454
	s_setvskip 0, 0                                            // 000000006170: BF108080
	s_setvskip s20, 2                                          // 000000006174: BF108214
	global_atomic_pk_add_bf16 v84, v69, s[8:9] offset:256      // 000000006178: DD488100 00084554
	s_setvskip 0, 0                                            // 000000006180: BF108080
	s_setvskip s20, 3                                          // 000000006184: BF108314
	global_atomic_pk_add_bf16 v86, v70, s[8:9]                 // 000000006188: DD488000 00084656
	s_setvskip 0, 0                                            // 000000006190: BF108080
	s_setvskip s20, 3                                          // 000000006194: BF108314
	global_atomic_pk_add_bf16 v86, v71, s[8:9] offset:256      // 000000006198: DD488100 00084756
	s_setvskip 0, 0                                            // 0000000061A0: BF108080
	s_setvskip s20, 4                                          // 0000000061A4: BF108414
	global_atomic_pk_add_bf16 v88, v72, s[8:9]                 // 0000000061A8: DD488000 00084858
	s_setvskip 0, 0                                            // 0000000061B0: BF108080
	s_setvskip s20, 4                                          // 0000000061B4: BF108414
	global_atomic_pk_add_bf16 v88, v73, s[8:9] offset:256      // 0000000061B8: DD488100 00084958
	s_setvskip 0, 0                                            // 0000000061C0: BF108080
	s_setvskip s20, 5                                          // 0000000061C4: BF108514
	global_atomic_pk_add_bf16 v90, v74, s[8:9]                 // 0000000061C8: DD488000 00084A5A
	s_setvskip 0, 0                                            // 0000000061D0: BF108080
	s_setvskip s20, 5                                          // 0000000061D4: BF108514
	global_atomic_pk_add_bf16 v90, v75, s[8:9] offset:256      // 0000000061D8: DD488100 00084B5A
	s_setvskip 0, 0                                            // 0000000061E0: BF108080
	s_setvskip s20, 6                                          // 0000000061E4: BF108614
	global_atomic_pk_add_bf16 v92, v76, s[8:9]                 // 0000000061E8: DD488000 00084C5C
	s_setvskip 0, 0                                            // 0000000061F0: BF108080
	s_setvskip s20, 6                                          // 0000000061F4: BF108614
	global_atomic_pk_add_bf16 v92, v77, s[8:9] offset:256      // 0000000061F8: DD488100 00084D5C
	s_setvskip 0, 0                                            // 000000006200: BF108080
	s_setvskip s20, 7                                          // 000000006204: BF108714
	global_atomic_pk_add_bf16 v94, v78, s[8:9]                 // 000000006208: DD488000 00084E5E
	s_setvskip 0, 0                                            // 000000006210: BF108080
	s_setvskip s20, 7                                          // 000000006214: BF108714
	global_atomic_pk_add_bf16 v94, v79, s[8:9] offset:256      // 000000006218: DD488100 00084F5E
	s_setvskip 0, 0                                            // 000000006220: BF108080
	s_add_u32 s8, s59, s8                                      // 000000006224: 8008083B
	s_addc_u32 s9, 0, s9                                       // 000000006228: 82090980
	s_addk_i32 s80, 0x100                                      // 00000000622C: B7500100
	s_cmp_lt_i32 s80, s81                                      // 000000006230: BF045150
	s_cbranch_scc0 label_0F9B                                  // 000000006234: BF84028D
	s_waitcnt vmcnt(12) lgkmcnt(0)                             // 000000006238: BF8C007C
	s_barrier                                                  // 00000000623C: BF8A0000
	v_mfma_f32_16x16x32_fp8_fp8 v[224:227], a[64:65], v[128:129], 0// 000000006240: D3F300E0 0A030140
	ds_read_b32 v64, v5 offset:38144                           // 000000006248: D86C9500 40000005
	ds_read_b32 v65, v5 offset:42496                           // 000000006250: D86CA600 41000005
	v_mfma_f32_16x16x32_fp8_fp8 v[224:227], a[66:67], v[130:131], v[224:227]// 000000006258: D3F300E0 0F830542
	buffer_load_dwordx4 a[0:3], v48, s[12:15], 0 offen         // 000000006260: E05C1000 80830030
	v_mfma_f32_16x16x32_fp8_fp8 v[228:231], a[64:65], v[144:145], 0// 000000006268: D3F300E4 0A032140
	ds_read_b32 v66, v5 offset:38176                           // 000000006270: D86C9520 42000005
	ds_read_b32 v67, v5 offset:42528                           // 000000006278: D86CA620 43000005
	v_mfma_f32_16x16x32_fp8_fp8 v[228:231], a[66:67], v[146:147], v[228:231]// 000000006280: D3F300E4 0F932542
	buffer_load_dword v23, v6, s[16:19], 0 offen               // 000000006288: E0501000 80041706
	v_mfma_f32_16x16x32_fp8_fp8 v[232:235], a[68:69], v[128:129], 0// 000000006290: D3F300E8 0A030144
	ds_read_b32 v68, v5 offset:38208                           // 000000006298: D86C9540 44000005
	ds_read_b32 v69, v5 offset:42560                           // 0000000062A0: D86CA640 45000005
	v_mfma_f32_16x16x32_fp8_fp8 v[232:235], a[70:71], v[130:131], v[232:235]// 0000000062A8: D3F300E8 0FA30546
	buffer_load_dwordx4 a[4:7], v49, s[12:15], 0 offen         // 0000000062B0: E05C1000 80830431
	v_mfma_f32_16x16x32_fp8_fp8 v[236:239], a[68:69], v[144:145], 0// 0000000062B8: D3F300EC 0A032144
	ds_read_b32 v70, v5 offset:38240                           // 0000000062C0: D86C9560 46000005
	ds_read_b32 v71, v5 offset:42592                           // 0000000062C8: D86CA660 47000005
	v_mfma_f32_16x16x32_fp8_fp8 v[236:239], a[70:71], v[146:147], v[236:239]// 0000000062D0: D3F300EC 0FB32546
	v_mfma_f32_16x16x32_fp8_fp8 v[240:243], a[72:73], v[128:129], 0// 0000000062D8: D3F300F0 0A030148
	ds_read_b32 v72, v5 offset:46848                           // 0000000062E0: D86CB700 48000005
	ds_read_b32 v73, v5 offset:51200                           // 0000000062E8: D86CC800 49000005
	v_mfma_f32_16x16x32_fp8_fp8 v[240:243], a[74:75], v[130:131], v[240:243]// 0000000062F0: D3F300F0 0FC3054A
	buffer_load_dwordx4 a[8:11], v50, s[12:15], 0 offen        // 0000000062F8: E05C1000 80830832
	v_mfma_f32_16x16x32_fp8_fp8 v[244:247], a[72:73], v[144:145], 0// 000000006300: D3F300F4 0A032148
	ds_read_b32 v74, v5 offset:46880                           // 000000006308: D86CB720 4A000005
	ds_read_b32 v75, v5 offset:51232                           // 000000006310: D86CC820 4B000005
	v_mfma_f32_16x16x32_fp8_fp8 v[244:247], a[74:75], v[146:147], v[244:247]// 000000006318: D3F300F4 0FD3254A
	v_mfma_f32_16x16x32_fp8_fp8 v[248:251], a[76:77], v[128:129], 0// 000000006320: D3F300F8 0A03014C
	ds_read_b32 v76, v5 offset:46912                           // 000000006328: D86CB740 4C000005
	ds_read_b32 v77, v5 offset:51264                           // 000000006330: D86CC840 4D000005
	v_mfma_f32_16x16x32_fp8_fp8 v[248:251], a[78:79], v[130:131], v[248:251]// 000000006338: D3F300F8 0FE3054E
	buffer_load_dwordx4 a[12:15], v51, s[12:15], 0 offen       // 000000006340: E05C1000 80830C33
	s_add_u32 s12, s78, s12                                    // 000000006348: 800C0C4E
	s_addc_u32 s13, 0, s13                                     // 00000000634C: 820D0D80
	v_mfma_f32_16x16x32_fp8_fp8 v[252:255], a[76:77], v[144:145], 0// 000000006350: D3F300FC 0A03214C
	ds_read_b32 v78, v5 offset:46944                           // 000000006358: D86CB760 4E000005
	ds_read_b32 v79, v5 offset:51296                           // 000000006360: D86CC860 4F000005
	v_mfma_f32_16x16x32_fp8_fp8 v[252:255], a[78:79], v[146:147], v[252:255]// 000000006368: D3F300FC 0FF3254E
	s_waitcnt vmcnt(13)                                        // 000000006370: BF8C0F7D
	v_mfma_f32_16x16x32_fp8_fp8 v[224:227], a[80:81], v[132:133], v[224:227]// 000000006374: D3F300E0 0F830950
	v_mfma_f32_16x16x32_fp8_fp8 v[224:227], a[82:83], v[134:135], v[224:227]// 00000000637C: D3F300E0 0F830D52
	buffer_load_dwordx4 a[16:19], v48, s[12:15], 0 offen       // 000000006384: E05C1000 80831030
	v_mfma_f32_16x16x32_fp8_fp8 v[228:231], a[80:81], v[148:149], v[228:231]// 00000000638C: D3F300E4 0F932950
	v_mfma_f32_16x16x32_fp8_fp8 v[228:231], a[82:83], v[150:151], v[228:231]// 000000006394: D3F300E4 0F932D52
	v_mfma_f32_16x16x32_fp8_fp8 v[232:235], a[84:85], v[132:133], v[232:235]// 00000000639C: D3F300E8 0FA30954
	v_mfma_f32_16x16x32_fp8_fp8 v[232:235], a[86:87], v[134:135], v[232:235]// 0000000063A4: D3F300E8 0FA30D56
	buffer_load_dwordx4 a[20:23], v49, s[12:15], 0 offen       // 0000000063AC: E05C1000 80831431
	v_mfma_f32_16x16x32_fp8_fp8 v[236:239], a[84:85], v[148:149], v[236:239]// 0000000063B4: D3F300EC 0FB32954
	v_mfma_f32_16x16x32_fp8_fp8 v[236:239], a[86:87], v[150:151], v[236:239]// 0000000063BC: D3F300EC 0FB32D56
	v_mfma_f32_16x16x32_fp8_fp8 v[240:243], a[88:89], v[132:133], v[240:243]// 0000000063C4: D3F300F0 0FC30958
	v_mfma_f32_16x16x32_fp8_fp8 v[240:243], a[90:91], v[134:135], v[240:243]// 0000000063CC: D3F300F0 0FC30D5A
	buffer_load_dwordx4 a[24:27], v50, s[12:15], 0 offen       // 0000000063D4: E05C1000 80831832
	v_mfma_f32_16x16x32_fp8_fp8 v[244:247], a[88:89], v[148:149], v[244:247]// 0000000063DC: D3F300F4 0FD32958
	v_mfma_f32_16x16x32_fp8_fp8 v[244:247], a[90:91], v[150:151], v[244:247]// 0000000063E4: D3F300F4 0FD32D5A
	v_mfma_f32_16x16x32_fp8_fp8 v[248:251], a[92:93], v[132:133], v[248:251]// 0000000063EC: D3F300F8 0FE3095C
	v_mfma_f32_16x16x32_fp8_fp8 v[248:251], a[94:95], v[134:135], v[248:251]// 0000000063F4: D3F300F8 0FE30D5E
	buffer_load_dwordx4 a[28:31], v51, s[12:15], 0 offen       // 0000000063FC: E05C1000 80831C33
	s_add_u32 s12, s78, s12                                    // 000000006404: 800C0C4E
	s_addc_u32 s13, 0, s13                                     // 000000006408: 820D0D80
	v_mfma_f32_16x16x32_fp8_fp8 v[252:255], a[92:93], v[148:149], v[252:255]// 00000000640C: D3F300FC 0FF3295C
	v_mfma_f32_16x16x32_fp8_fp8 v[252:255], a[94:95], v[150:151], v[252:255]// 000000006414: D3F300FC 0FF32D5E
	v_mul_f32_dpp v56, v24, v32 row_newbcast:0 row_mask:0xf bank_mask:0xf// 00000000641C: 0A7040FA FF015018
	v_mov_b32_e32 v57, v56                                     // 000000006424: 7E720338
	v_pk_mul_f32 v[224:225], v[56:57], v[224:225]              // 000000006428: D3B140E0 1803C138
	v_pk_mul_f32 v[226:227], v[56:57], v[226:227]              // 000000006430: D3B140E2 1803C538
	v_pk_mul_f32 v[232:233], v[56:57], v[232:233]              // 000000006438: D3B140E8 1803D138
	v_pk_mul_f32 v[234:235], v[56:57], v[234:235]              // 000000006440: D3B140EA 1803D538
	v_mul_f32_dpp v56, v24, v32 row_newbcast:1 row_mask:0xf bank_mask:0xf// 000000006448: 0A7040FA FF015118
	v_mov_b32_e32 v57, v56                                     // 000000006450: 7E720338
	v_pk_mul_f32 v[240:241], v[56:57], v[240:241]              // 000000006454: D3B140F0 1803E138
	v_pk_mul_f32 v[242:243], v[56:57], v[242:243]              // 00000000645C: D3B140F2 1803E538
	v_pk_mul_f32 v[248:249], v[56:57], v[248:249]              // 000000006464: D3B140F8 1803F138
	v_pk_mul_f32 v[250:251], v[56:57], v[250:251]              // 00000000646C: D3B140FA 1803F538
	v_mul_f32_dpp v56, v24, v33 row_newbcast:0 row_mask:0xf bank_mask:0xf// 000000006474: 0A7042FA FF015018
	v_mov_b32_e32 v57, v56                                     // 00000000647C: 7E720338
	v_pk_mul_f32 v[228:229], v[56:57], v[228:229]              // 000000006480: D3B140E4 1803C938
	v_pk_mul_f32 v[230:231], v[56:57], v[230:231]              // 000000006488: D3B140E6 1803CD38
	v_pk_mul_f32 v[236:237], v[56:57], v[236:237]              // 000000006490: D3B140EC 1803D938
	v_pk_mul_f32 v[238:239], v[56:57], v[238:239]              // 000000006498: D3B140EE 1803DD38
	v_mul_f32_dpp v56, v24, v33 row_newbcast:1 row_mask:0xf bank_mask:0xf// 0000000064A0: 0A7042FA FF015118
	v_mov_b32_e32 v57, v56                                     // 0000000064A8: 7E720338
	v_pk_mul_f32 v[244:245], v[56:57], v[244:245]              // 0000000064AC: D3B140F4 1803E938
	v_pk_mul_f32 v[246:247], v[56:57], v[246:247]              // 0000000064B4: D3B140F6 1803ED38
	v_pk_mul_f32 v[252:253], v[56:57], v[252:253]              // 0000000064BC: D3B140FC 1803F938
	v_pk_mul_f32 v[254:255], v[56:57], v[254:255]              // 0000000064C4: D3B140FE 1803FD38
	s_waitcnt vmcnt(13)                                        // 0000000064CC: BF8C0F7D
	v_mfma_f32_16x16x32_fp8_fp8 v[160:163], a[96:97], v[136:137], 0// 0000000064D0: D3F300A0 0A031160
	ds_write_b64 v4, v[192:193] offset:20736                   // 0000000064D8: D89A5100 0000C004
	v_mfma_f32_16x16x32_fp8_fp8 v[160:163], a[98:99], v[138:139], v[160:163]// 0000000064E0: D3F300A0 0E831562
	buffer_load_dwordx4 a[32:35], v48, s[12:15], 0 offen       // 0000000064E8: E05C1000 80832030
	v_mfma_f32_16x16x32_fp8_fp8 v[164:167], a[96:97], v[152:153], 0// 0000000064F0: D3F300A4 0A033160
	ds_write_b64 v4, v[194:195] offset:29440                   // 0000000064F8: D89A7300 0000C204
	v_mfma_f32_16x16x32_fp8_fp8 v[164:167], a[98:99], v[154:155], v[164:167]// 000000006500: D3F300A4 0E933562
	v_mfma_f32_16x16x32_fp8_fp8 v[168:171], a[100:101], v[136:137], 0// 000000006508: D3F300A8 0A031164
	ds_write_b64 v4, v[196:197] offset:22912                   // 000000006510: D89A5980 0000C404
	v_mfma_f32_16x16x32_fp8_fp8 v[168:171], a[102:103], v[138:139], v[168:171]// 000000006518: D3F300A8 0EA31566
	buffer_load_dwordx4 a[36:39], v49, s[12:15], 0 offen       // 000000006520: E05C1000 80832431
	v_mfma_f32_16x16x32_fp8_fp8 v[172:175], a[100:101], v[152:153], 0// 000000006528: D3F300AC 0A033164
	ds_write_b64 v4, v[198:199] offset:31616                   // 000000006530: D89A7B80 0000C604
	v_mfma_f32_16x16x32_fp8_fp8 v[172:175], a[102:103], v[154:155], v[172:175]// 000000006538: D3F300AC 0EB33566
	v_mfma_f32_16x16x32_fp8_fp8 v[176:179], a[104:105], v[136:137], 0// 000000006540: D3F300B0 0A031168
	ds_write_b64 v4, v[200:201] offset:25088                   // 000000006548: D89A6200 0000C804
	v_mfma_f32_16x16x32_fp8_fp8 v[176:179], a[106:107], v[138:139], v[176:179]// 000000006550: D3F300B0 0EC3156A
	buffer_load_dwordx4 a[40:43], v50, s[12:15], 0 offen       // 000000006558: E05C1000 80832832
	v_mfma_f32_16x16x32_fp8_fp8 v[180:183], a[104:105], v[152:153], 0// 000000006560: D3F300B4 0A033168
	ds_write_b64 v4, v[202:203] offset:33792                   // 000000006568: D89A8400 0000CA04
	v_mfma_f32_16x16x32_fp8_fp8 v[180:183], a[106:107], v[154:155], v[180:183]// 000000006570: D3F300B4 0ED3356A
	v_mfma_f32_16x16x32_fp8_fp8 v[184:187], a[108:109], v[136:137], 0// 000000006578: D3F300B8 0A03116C
	ds_write_b64 v4, v[204:205] offset:27264                   // 000000006580: D89A6A80 0000CC04
	v_mfma_f32_16x16x32_fp8_fp8 v[184:187], a[110:111], v[138:139], v[184:187]// 000000006588: D3F300B8 0EE3156E
	buffer_load_dwordx4 a[44:47], v51, s[12:15], 0 offen       // 000000006590: E05C1000 80832C33
	s_add_u32 s12, s78, s12                                    // 000000006598: 800C0C4E
	s_addc_u32 s13, 0, s13                                     // 00000000659C: 820D0D80
	v_mfma_f32_16x16x32_fp8_fp8 v[188:191], a[108:109], v[152:153], 0// 0000000065A0: D3F300BC 0A03316C
	ds_write_b64 v4, v[206:207] offset:35968                   // 0000000065A8: D89A8C80 0000CE04
	v_mfma_f32_16x16x32_fp8_fp8 v[188:191], a[110:111], v[154:155], v[188:191]// 0000000065B0: D3F300BC 0EF3356E
	s_waitcnt vmcnt(13)                                        // 0000000065B8: BF8C0F7D
	v_mfma_f32_16x16x32_fp8_fp8 v[160:163], a[112:113], v[140:141], v[160:163]// 0000000065BC: D3F300A0 0E831970
	v_mfma_f32_16x16x32_fp8_fp8 v[160:163], a[114:115], v[142:143], v[160:163]// 0000000065C4: D3F300A0 0E831D72
	buffer_load_dwordx4 a[48:51], v48, s[12:15], 0 offen       // 0000000065CC: E05C1000 80833030
	v_mfma_f32_16x16x32_fp8_fp8 v[164:167], a[112:113], v[156:157], v[164:167]// 0000000065D4: D3F300A4 0E933970
	v_mfma_f32_16x16x32_fp8_fp8 v[164:167], a[114:115], v[158:159], v[164:167]// 0000000065DC: D3F300A4 0E933D72
	v_mfma_f32_16x16x32_fp8_fp8 v[168:171], a[116:117], v[140:141], v[168:171]// 0000000065E4: D3F300A8 0EA31974
	v_mfma_f32_16x16x32_fp8_fp8 v[168:171], a[118:119], v[142:143], v[168:171]// 0000000065EC: D3F300A8 0EA31D76
	buffer_load_dwordx4 a[52:55], v49, s[12:15], 0 offen       // 0000000065F4: E05C1000 80833431
	v_mfma_f32_16x16x32_fp8_fp8 v[172:175], a[116:117], v[156:157], v[172:175]// 0000000065FC: D3F300AC 0EB33974
	v_mfma_f32_16x16x32_fp8_fp8 v[172:175], a[118:119], v[158:159], v[172:175]// 000000006604: D3F300AC 0EB33D76
	v_mfma_f32_16x16x32_fp8_fp8 v[176:179], a[120:121], v[140:141], v[176:179]// 00000000660C: D3F300B0 0EC31978
	v_mfma_f32_16x16x32_fp8_fp8 v[176:179], a[122:123], v[142:143], v[176:179]// 000000006614: D3F300B0 0EC31D7A
	buffer_load_dwordx4 a[56:59], v50, s[12:15], 0 offen       // 00000000661C: E05C1000 80833832
	v_mfma_f32_16x16x32_fp8_fp8 v[180:183], a[120:121], v[156:157], v[180:183]// 000000006624: D3F300B4 0ED33978
	v_mfma_f32_16x16x32_fp8_fp8 v[180:183], a[122:123], v[158:159], v[180:183]// 00000000662C: D3F300B4 0ED33D7A
	v_mfma_f32_16x16x32_fp8_fp8 v[184:187], a[124:125], v[140:141], v[184:187]// 000000006634: D3F300B8 0EE3197C
	v_mfma_f32_16x16x32_fp8_fp8 v[184:187], a[126:127], v[142:143], v[184:187]// 00000000663C: D3F300B8 0EE31D7E
	buffer_load_dwordx4 a[60:63], v51, s[12:15], 0 offen       // 000000006644: E05C1000 80833C33
	v_mfma_f32_16x16x32_fp8_fp8 v[188:191], a[124:125], v[156:157], v[188:191]// 00000000664C: D3F300BC 0EF3397C
	v_mfma_f32_16x16x32_fp8_fp8 v[188:191], a[126:127], v[158:159], v[188:191]// 000000006654: D3F300BC 0EF33D7E
	v_mul_f32_dpp v56, v24, v34 row_newbcast:2 row_mask:0xf bank_mask:0xf// 00000000665C: 0A7044FA FF015218
	v_mov_b32_e32 v57, v56                                     // 000000006664: 7E720338
	v_pk_fma_f32 v[224:225], v[160:161], v[56:57], v[224:225]  // 000000006668: D3B040E0 1F8271A0
	v_pk_fma_f32 v[226:227], v[162:163], v[56:57], v[226:227]  // 000000006670: D3B040E2 1F8A71A2
	v_pk_fma_f32 v[232:233], v[168:169], v[56:57], v[232:233]  // 000000006678: D3B040E8 1FA271A8
	v_pk_fma_f32 v[234:235], v[170:171], v[56:57], v[234:235]  // 000000006680: D3B040EA 1FAA71AA
	v_mul_f32_dpp v56, v24, v34 row_newbcast:3 row_mask:0xf bank_mask:0xf// 000000006688: 0A7044FA FF015318
	v_mov_b32_e32 v57, v56                                     // 000000006690: 7E720338
	v_pk_fma_f32 v[240:241], v[176:177], v[56:57], v[240:241]  // 000000006694: D3B040F0 1FC271B0
	v_pk_fma_f32 v[242:243], v[178:179], v[56:57], v[242:243]  // 00000000669C: D3B040F2 1FCA71B2
	v_pk_fma_f32 v[248:249], v[184:185], v[56:57], v[248:249]  // 0000000066A4: D3B040F8 1FE271B8
	v_pk_fma_f32 v[250:251], v[186:187], v[56:57], v[250:251]  // 0000000066AC: D3B040FA 1FEA71BA
	v_mul_f32_dpp v56, v24, v35 row_newbcast:2 row_mask:0xf bank_mask:0xf// 0000000066B4: 0A7046FA FF015218
	v_mov_b32_e32 v57, v56                                     // 0000000066BC: 7E720338
	v_pk_fma_f32 v[228:229], v[164:165], v[56:57], v[228:229]  // 0000000066C0: D3B040E4 1F9271A4
	v_pk_fma_f32 v[230:231], v[166:167], v[56:57], v[230:231]  // 0000000066C8: D3B040E6 1F9A71A6
	v_pk_fma_f32 v[236:237], v[172:173], v[56:57], v[236:237]  // 0000000066D0: D3B040EC 1FB271AC
	v_pk_fma_f32 v[238:239], v[174:175], v[56:57], v[238:239]  // 0000000066D8: D3B040EE 1FBA71AE
	v_mul_f32_dpp v56, v24, v35 row_newbcast:3 row_mask:0xf bank_mask:0xf// 0000000066E0: 0A7046FA FF015318
	v_mov_b32_e32 v57, v56                                     // 0000000066E8: 7E720338
	v_pk_fma_f32 v[244:245], v[180:181], v[56:57], v[244:245]  // 0000000066EC: D3B040F4 1FD271B4
	v_pk_fma_f32 v[246:247], v[182:183], v[56:57], v[246:247]  // 0000000066F4: D3B040F6 1FDA71B6
	v_pk_fma_f32 v[252:253], v[188:189], v[56:57], v[252:253]  // 0000000066FC: D3B040FC 1FF271BC
	v_pk_fma_f32 v[254:255], v[190:191], v[56:57], v[254:255]  // 000000006704: D3B040FE 1FFA71BE
	s_add_u32 s60, 0x200, s80                                  // 00000000670C: 803C50FF 00000200
	s_cmp_lt_u32 s60, s81                                      // 000000006714: BF0A513C
	s_cselect_b32 s56, s56, 0                                  // 000000006718: 85388038
	s_cselect_b32 s78, s78, 0                                  // 00000000671C: 854E804E
	s_cselect_b32 s79, s79, 0                                  // 000000006720: 854F804F
	s_add_u32 s12, s56, s12                                    // 000000006724: 800C0C38
	s_addc_u32 s13, 0, s13                                     // 000000006728: 820D0D80
	s_add_u32 s16, s79, s16                                    // 00000000672C: 8010104F
	s_addc_u32 s17, 0, s17                                     // 000000006730: 82111180
	v_mov_b32_e32 v56, v25                                     // 000000006734: 7E700319
	v_mov_b32_e32 v57, v25                                     // 000000006738: 7E720319
	v_pk_mul_f32 v[224:225], v[56:57], v[224:225]              // 00000000673C: D3B140E0 1803C138
	v_pk_mul_f32 v[226:227], v[56:57], v[226:227]              // 000000006744: D3B140E2 1803C538
	v_pk_mul_f32 v[232:233], v[56:57], v[232:233]              // 00000000674C: D3B140E8 1803D138
	v_pk_mul_f32 v[234:235], v[56:57], v[234:235]              // 000000006754: D3B140EA 1803D538
	v_pk_mul_f32 v[240:241], v[56:57], v[240:241]              // 00000000675C: D3B140F0 1803E138
	v_pk_mul_f32 v[242:243], v[56:57], v[242:243]              // 000000006764: D3B140F2 1803E538
	v_pk_mul_f32 v[248:249], v[56:57], v[248:249]              // 00000000676C: D3B140F8 1803F138
	v_pk_mul_f32 v[250:251], v[56:57], v[250:251]              // 000000006774: D3B140FA 1803F538
	v_mov_b32_e32 v56, v26                                     // 00000000677C: 7E70031A
	v_mov_b32_e32 v57, v26                                     // 000000006780: 7E72031A
	v_pk_mul_f32 v[228:229], v[56:57], v[228:229]              // 000000006784: D3B140E4 1803C938
	v_pk_mul_f32 v[230:231], v[56:57], v[230:231]              // 00000000678C: D3B140E6 1803CD38
	v_pk_mul_f32 v[236:237], v[56:57], v[236:237]              // 000000006794: D3B140EC 1803D938
	v_pk_mul_f32 v[238:239], v[56:57], v[238:239]              // 00000000679C: D3B140EE 1803DD38
	v_pk_mul_f32 v[244:245], v[56:57], v[244:245]              // 0000000067A4: D3B140F4 1803E938
	v_pk_mul_f32 v[246:247], v[56:57], v[246:247]              // 0000000067AC: D3B140F6 1803ED38
	v_pk_mul_f32 v[252:253], v[56:57], v[252:253]              // 0000000067B4: D3B140FC 1803F938
	v_pk_mul_f32 v[254:255], v[56:57], v[254:255]              // 0000000067BC: D3B140FE 1803FD38
	v_cmp_u_f32_e64 s[48:49], v224, v224                       // 0000000067C4: D0480030 0003C1E0
	v_add3_u32 v52, v224, v55, 1                               // 0000000067CC: D1FF0034 02066FE0
	v_cndmask_b32_e64 v56, v52, v54, s[48:49]                  // 0000000067D4: D1000038 00C26D34
	v_cmp_u_f32_e64 s[48:49], v225, v225                       // 0000000067DC: D0480030 0003C3E1
	v_add3_u32 v52, v225, v55, 1                               // 0000000067E4: D1FF0034 02066FE1
	v_cndmask_b32_e64 v57, v52, v54, s[48:49]                  // 0000000067EC: D1000039 00C26D34
	v_perm_b32 v224, v57, v56, s52                             // 0000000067F4: D1ED00E0 00D27139
	v_cmp_u_f32_e64 s[48:49], v226, v226                       // 0000000067FC: D0480030 0003C5E2
	v_add3_u32 v52, v226, v55, 1                               // 000000006804: D1FF0034 02066FE2
	v_cndmask_b32_e64 v56, v52, v54, s[48:49]                  // 00000000680C: D1000038 00C26D34
	v_cmp_u_f32_e64 s[48:49], v227, v227                       // 000000006814: D0480030 0003C7E3
	v_add3_u32 v52, v227, v55, 1                               // 00000000681C: D1FF0034 02066FE3
	v_cndmask_b32_e64 v57, v52, v54, s[48:49]                  // 000000006824: D1000039 00C26D34
	v_perm_b32 v225, v57, v56, s52                             // 00000000682C: D1ED00E1 00D27139
	v_cmp_u_f32_e64 s[48:49], v228, v228                       // 000000006834: D0480030 0003C9E4
	v_add3_u32 v52, v228, v55, 1                               // 00000000683C: D1FF0034 02066FE4
	v_cndmask_b32_e64 v56, v52, v54, s[48:49]                  // 000000006844: D1000038 00C26D34
	v_cmp_u_f32_e64 s[48:49], v229, v229                       // 00000000684C: D0480030 0003CBE5
	v_add3_u32 v52, v229, v55, 1                               // 000000006854: D1FF0034 02066FE5
	v_cndmask_b32_e64 v57, v52, v54, s[48:49]                  // 00000000685C: D1000039 00C26D34
	v_perm_b32 v226, v57, v56, s52                             // 000000006864: D1ED00E2 00D27139
	v_cmp_u_f32_e64 s[48:49], v230, v230                       // 00000000686C: D0480030 0003CDE6
	v_add3_u32 v52, v230, v55, 1                               // 000000006874: D1FF0034 02066FE6
	v_cndmask_b32_e64 v56, v52, v54, s[48:49]                  // 00000000687C: D1000038 00C26D34
	v_cmp_u_f32_e64 s[48:49], v231, v231                       // 000000006884: D0480030 0003CFE7
	v_add3_u32 v52, v231, v55, 1                               // 00000000688C: D1FF0034 02066FE7
	v_cndmask_b32_e64 v57, v52, v54, s[48:49]                  // 000000006894: D1000039 00C26D34
	v_perm_b32 v227, v57, v56, s52                             // 00000000689C: D1ED00E3 00D27139
	v_cmp_u_f32_e64 s[48:49], v232, v232                       // 0000000068A4: D0480030 0003D1E8
	v_add3_u32 v52, v232, v55, 1                               // 0000000068AC: D1FF0034 02066FE8
	v_cndmask_b32_e64 v56, v52, v54, s[48:49]                  // 0000000068B4: D1000038 00C26D34
	v_cmp_u_f32_e64 s[48:49], v233, v233                       // 0000000068BC: D0480030 0003D3E9
	v_add3_u32 v52, v233, v55, 1                               // 0000000068C4: D1FF0034 02066FE9
	v_cndmask_b32_e64 v57, v52, v54, s[48:49]                  // 0000000068CC: D1000039 00C26D34
	v_perm_b32 v228, v57, v56, s52                             // 0000000068D4: D1ED00E4 00D27139
	v_cmp_u_f32_e64 s[48:49], v234, v234                       // 0000000068DC: D0480030 0003D5EA
	v_add3_u32 v52, v234, v55, 1                               // 0000000068E4: D1FF0034 02066FEA
	v_cndmask_b32_e64 v56, v52, v54, s[48:49]                  // 0000000068EC: D1000038 00C26D34
	v_cmp_u_f32_e64 s[48:49], v235, v235                       // 0000000068F4: D0480030 0003D7EB
	v_add3_u32 v52, v235, v55, 1                               // 0000000068FC: D1FF0034 02066FEB
	v_cndmask_b32_e64 v57, v52, v54, s[48:49]                  // 000000006904: D1000039 00C26D34
	v_perm_b32 v229, v57, v56, s52                             // 00000000690C: D1ED00E5 00D27139
	v_cmp_u_f32_e64 s[48:49], v236, v236                       // 000000006914: D0480030 0003D9EC
	v_add3_u32 v52, v236, v55, 1                               // 00000000691C: D1FF0034 02066FEC
	v_cndmask_b32_e64 v56, v52, v54, s[48:49]                  // 000000006924: D1000038 00C26D34
	v_cmp_u_f32_e64 s[48:49], v237, v237                       // 00000000692C: D0480030 0003DBED
	v_add3_u32 v52, v237, v55, 1                               // 000000006934: D1FF0034 02066FED
	v_cndmask_b32_e64 v57, v52, v54, s[48:49]                  // 00000000693C: D1000039 00C26D34
	v_perm_b32 v230, v57, v56, s52                             // 000000006944: D1ED00E6 00D27139
	v_cmp_u_f32_e64 s[48:49], v238, v238                       // 00000000694C: D0480030 0003DDEE
	v_add3_u32 v52, v238, v55, 1                               // 000000006954: D1FF0034 02066FEE
	v_cndmask_b32_e64 v56, v52, v54, s[48:49]                  // 00000000695C: D1000038 00C26D34
	v_cmp_u_f32_e64 s[48:49], v239, v239                       // 000000006964: D0480030 0003DFEF
	v_add3_u32 v52, v239, v55, 1                               // 00000000696C: D1FF0034 02066FEF
	v_cndmask_b32_e64 v57, v52, v54, s[48:49]                  // 000000006974: D1000039 00C26D34
	v_perm_b32 v231, v57, v56, s52                             // 00000000697C: D1ED00E7 00D27139
	v_cmp_u_f32_e64 s[48:49], v240, v240                       // 000000006984: D0480030 0003E1F0
	v_add3_u32 v52, v240, v55, 1                               // 00000000698C: D1FF0034 02066FF0
	v_cndmask_b32_e64 v56, v52, v54, s[48:49]                  // 000000006994: D1000038 00C26D34
	v_cmp_u_f32_e64 s[48:49], v241, v241                       // 00000000699C: D0480030 0003E3F1
	v_add3_u32 v52, v241, v55, 1                               // 0000000069A4: D1FF0034 02066FF1
	v_cndmask_b32_e64 v57, v52, v54, s[48:49]                  // 0000000069AC: D1000039 00C26D34
	v_perm_b32 v232, v57, v56, s52                             // 0000000069B4: D1ED00E8 00D27139
	v_cmp_u_f32_e64 s[48:49], v242, v242                       // 0000000069BC: D0480030 0003E5F2
	v_add3_u32 v52, v242, v55, 1                               // 0000000069C4: D1FF0034 02066FF2
	v_cndmask_b32_e64 v56, v52, v54, s[48:49]                  // 0000000069CC: D1000038 00C26D34
	v_cmp_u_f32_e64 s[48:49], v243, v243                       // 0000000069D4: D0480030 0003E7F3
	v_add3_u32 v52, v243, v55, 1                               // 0000000069DC: D1FF0034 02066FF3
	v_cndmask_b32_e64 v57, v52, v54, s[48:49]                  // 0000000069E4: D1000039 00C26D34
	v_perm_b32 v233, v57, v56, s52                             // 0000000069EC: D1ED00E9 00D27139
	v_cmp_u_f32_e64 s[48:49], v244, v244                       // 0000000069F4: D0480030 0003E9F4
	v_add3_u32 v52, v244, v55, 1                               // 0000000069FC: D1FF0034 02066FF4
	v_cndmask_b32_e64 v56, v52, v54, s[48:49]                  // 000000006A04: D1000038 00C26D34
	v_cmp_u_f32_e64 s[48:49], v245, v245                       // 000000006A0C: D0480030 0003EBF5
	v_add3_u32 v52, v245, v55, 1                               // 000000006A14: D1FF0034 02066FF5
	v_cndmask_b32_e64 v57, v52, v54, s[48:49]                  // 000000006A1C: D1000039 00C26D34
	v_perm_b32 v234, v57, v56, s52                             // 000000006A24: D1ED00EA 00D27139
	v_cmp_u_f32_e64 s[48:49], v246, v246                       // 000000006A2C: D0480030 0003EDF6
	v_add3_u32 v52, v246, v55, 1                               // 000000006A34: D1FF0034 02066FF6
	v_cndmask_b32_e64 v56, v52, v54, s[48:49]                  // 000000006A3C: D1000038 00C26D34
	v_cmp_u_f32_e64 s[48:49], v247, v247                       // 000000006A44: D0480030 0003EFF7
	v_add3_u32 v52, v247, v55, 1                               // 000000006A4C: D1FF0034 02066FF7
	v_cndmask_b32_e64 v57, v52, v54, s[48:49]                  // 000000006A54: D1000039 00C26D34
	v_perm_b32 v235, v57, v56, s52                             // 000000006A5C: D1ED00EB 00D27139
	v_cmp_u_f32_e64 s[48:49], v248, v248                       // 000000006A64: D0480030 0003F1F8
	v_add3_u32 v52, v248, v55, 1                               // 000000006A6C: D1FF0034 02066FF8
	v_cndmask_b32_e64 v56, v52, v54, s[48:49]                  // 000000006A74: D1000038 00C26D34
	v_cmp_u_f32_e64 s[48:49], v249, v249                       // 000000006A7C: D0480030 0003F3F9
	v_add3_u32 v52, v249, v55, 1                               // 000000006A84: D1FF0034 02066FF9
	v_cndmask_b32_e64 v57, v52, v54, s[48:49]                  // 000000006A8C: D1000039 00C26D34
	v_perm_b32 v236, v57, v56, s52                             // 000000006A94: D1ED00EC 00D27139
	v_cmp_u_f32_e64 s[48:49], v250, v250                       // 000000006A9C: D0480030 0003F5FA
	v_add3_u32 v52, v250, v55, 1                               // 000000006AA4: D1FF0034 02066FFA
	v_cndmask_b32_e64 v56, v52, v54, s[48:49]                  // 000000006AAC: D1000038 00C26D34
	v_cmp_u_f32_e64 s[48:49], v251, v251                       // 000000006AB4: D0480030 0003F7FB
	v_add3_u32 v52, v251, v55, 1                               // 000000006ABC: D1FF0034 02066FFB
	v_cndmask_b32_e64 v57, v52, v54, s[48:49]                  // 000000006AC4: D1000039 00C26D34
	v_perm_b32 v237, v57, v56, s52                             // 000000006ACC: D1ED00ED 00D27139
	v_cmp_u_f32_e64 s[48:49], v252, v252                       // 000000006AD4: D0480030 0003F9FC
	v_add3_u32 v52, v252, v55, 1                               // 000000006ADC: D1FF0034 02066FFC
	v_cndmask_b32_e64 v56, v52, v54, s[48:49]                  // 000000006AE4: D1000038 00C26D34
	v_cmp_u_f32_e64 s[48:49], v253, v253                       // 000000006AEC: D0480030 0003FBFD
	v_add3_u32 v52, v253, v55, 1                               // 000000006AF4: D1FF0034 02066FFD
	v_cndmask_b32_e64 v57, v52, v54, s[48:49]                  // 000000006AFC: D1000039 00C26D34
	v_perm_b32 v238, v57, v56, s52                             // 000000006B04: D1ED00EE 00D27139
	v_cmp_u_f32_e64 s[48:49], v254, v254                       // 000000006B0C: D0480030 0003FDFE
	v_add3_u32 v52, v254, v55, 1                               // 000000006B14: D1FF0034 02066FFE
	v_cndmask_b32_e64 v56, v52, v54, s[48:49]                  // 000000006B1C: D1000038 00C26D34
	v_cmp_u_f32_e64 s[48:49], v255, v255                       // 000000006B24: D0480030 0003FFFF
	v_add3_u32 v52, v255, v55, 1                               // 000000006B2C: D1FF0034 02066FFF
	v_cndmask_b32_e64 v57, v52, v54, s[48:49]                  // 000000006B34: D1000039 00C26D34
	v_perm_b32 v239, v57, v56, s52                             // 000000006B3C: D1ED00EF 00D27139
	s_cmp_ge_u32 s80, 0x200                                    // 000000006B44: BF09FF50 00000200
	s_cselect_b32 s59, 0x200, s59                              // 000000006B4C: 853B3BFF 00000200
	s_setvskip s20, 0                                          // 000000006B54: BF108014
	global_atomic_pk_add_bf16 v80, v64, s[8:9]                 // 000000006B58: DD488000 00084050
	s_setvskip 0, 0                                            // 000000006B60: BF108080
	s_setvskip s20, 0                                          // 000000006B64: BF108014
	global_atomic_pk_add_bf16 v80, v65, s[8:9] offset:256      // 000000006B68: DD488100 00084150
	s_setvskip 0, 0                                            // 000000006B70: BF108080
	s_setvskip s20, 1                                          // 000000006B74: BF108114
	global_atomic_pk_add_bf16 v82, v66, s[8:9]                 // 000000006B78: DD488000 00084252
	s_setvskip 0, 0                                            // 000000006B80: BF108080
	s_setvskip s20, 1                                          // 000000006B84: BF108114
	global_atomic_pk_add_bf16 v82, v67, s[8:9] offset:256      // 000000006B88: DD488100 00084352
	s_setvskip 0, 0                                            // 000000006B90: BF108080
	s_setvskip s20, 2                                          // 000000006B94: BF108214
	global_atomic_pk_add_bf16 v84, v68, s[8:9]                 // 000000006B98: DD488000 00084454
	s_setvskip 0, 0                                            // 000000006BA0: BF108080
	s_setvskip s20, 2                                          // 000000006BA4: BF108214
	global_atomic_pk_add_bf16 v84, v69, s[8:9] offset:256      // 000000006BA8: DD488100 00084554
	s_setvskip 0, 0                                            // 000000006BB0: BF108080
	s_setvskip s20, 3                                          // 000000006BB4: BF108314
	global_atomic_pk_add_bf16 v86, v70, s[8:9]                 // 000000006BB8: DD488000 00084656
	s_setvskip 0, 0                                            // 000000006BC0: BF108080
	s_setvskip s20, 3                                          // 000000006BC4: BF108314
	global_atomic_pk_add_bf16 v86, v71, s[8:9] offset:256      // 000000006BC8: DD488100 00084756
	s_setvskip 0, 0                                            // 000000006BD0: BF108080
	s_setvskip s20, 4                                          // 000000006BD4: BF108414
	global_atomic_pk_add_bf16 v88, v72, s[8:9]                 // 000000006BD8: DD488000 00084858
	s_setvskip 0, 0                                            // 000000006BE0: BF108080
	s_setvskip s20, 4                                          // 000000006BE4: BF108414
	global_atomic_pk_add_bf16 v88, v73, s[8:9] offset:256      // 000000006BE8: DD488100 00084958
	s_setvskip 0, 0                                            // 000000006BF0: BF108080
	s_setvskip s20, 5                                          // 000000006BF4: BF108514
	global_atomic_pk_add_bf16 v90, v74, s[8:9]                 // 000000006BF8: DD488000 00084A5A
	s_setvskip 0, 0                                            // 000000006C00: BF108080
	s_setvskip s20, 5                                          // 000000006C04: BF108514
	global_atomic_pk_add_bf16 v90, v75, s[8:9] offset:256      // 000000006C08: DD488100 00084B5A
	s_setvskip 0, 0                                            // 000000006C10: BF108080
	s_setvskip s20, 6                                          // 000000006C14: BF108614
	global_atomic_pk_add_bf16 v92, v76, s[8:9]                 // 000000006C18: DD488000 00084C5C
	s_setvskip 0, 0                                            // 000000006C20: BF108080
	s_setvskip s20, 6                                          // 000000006C24: BF108614
	global_atomic_pk_add_bf16 v92, v77, s[8:9] offset:256      // 000000006C28: DD488100 00084D5C
	s_setvskip 0, 0                                            // 000000006C30: BF108080
	s_setvskip s20, 7                                          // 000000006C34: BF108714
	global_atomic_pk_add_bf16 v94, v78, s[8:9]                 // 000000006C38: DD488000 00084E5E
	s_setvskip 0, 0                                            // 000000006C40: BF108080
	s_setvskip s20, 7                                          // 000000006C44: BF108714
	global_atomic_pk_add_bf16 v94, v79, s[8:9] offset:256      // 000000006C48: DD488100 00084F5E
	s_setvskip 0, 0                                            // 000000006C50: BF108080
	s_add_u32 s8, s59, s8                                      // 000000006C54: 8008083B
	s_addc_u32 s9, 0, s9                                       // 000000006C58: 82090980
	s_addk_i32 s80, 0x100                                      // 000000006C5C: B7500100
	s_cmp_lt_i32 s80, s81                                      // 000000006C60: BF045150
	s_cbranch_scc0 label_0F9B                                  // 000000006C64: BF840001
	s_branch label_0A82                                        // 000000006C68: BF82FAE7

0000000000006c6c <label_0F9B>:
	s_nop 0                                                    // 000000006C6C: BF800000
	s_nop 0                                                    // 000000006C70: BF800000
	s_branch label_1C49                                        // 000000006C74: BF820CAB

0000000000006c78 <label_0F9E>:
	s_waitcnt vmcnt(8) lgkmcnt(0)                              // 000000006C78: BF8C0078
	s_barrier                                                  // 000000006C7C: BF8A0000
	v_mfma_f32_16x16x32_fp8_fp8 v[160:163], a[0:1], v[192:193], 0// 000000006C80: D3F300A0 0A038100
	buffer_load_dwordx4 a[64:67], v44, s[92:95], 0 offen       // 000000006C88: E05C1000 8097402C
	v_mfma_f32_16x16x32_fp8_fp8 v[160:163], a[2:3], v[194:195], v[160:163]// 000000006C90: D3F300A0 0E838502
	v_mfma_f32_16x16x32_fp8_fp8 v[160:163], a[4:5], v[196:197], v[160:163]// 000000006C98: D3F300A0 0E838904
	buffer_load_dword v36, s[20:23], 0 offen lds               // 000000006CA0: E0511000 80050024
	s_add_u32 m0, 0x100, s51                                   // 000000006CA8: 807C33FF 00000100
	v_mfma_f32_16x16x32_fp8_fp8 v[160:163], a[6:7], v[198:199], v[160:163]// 000000006CB0: D3F300A0 0E838D06
	v_mfma_f32_16x16x32_fp8_fp8 v[164:167], a[0:1], v[208:209], 0// 000000006CB8: D3F300A4 0A03A100
	buffer_load_dwordx4 a[68:71], v44, s[92:95], 0 offen offset:1024// 000000006CC0: E05C1400 8097442C
	v_mfma_f32_16x16x32_fp8_fp8 v[164:167], a[2:3], v[210:211], v[164:167]// 000000006CC8: D3F300A4 0E93A502
	v_mfma_f32_16x16x32_fp8_fp8 v[164:167], a[4:5], v[212:213], v[164:167]// 000000006CD0: D3F300A4 0E93A904
	buffer_load_dword v37, s[20:23], 0 offen lds               // 000000006CD8: E0511000 80050025
	s_add_u32 m0, 0x200, s51                                   // 000000006CE0: 807C33FF 00000200
	v_mfma_f32_16x16x32_fp8_fp8 v[164:167], a[6:7], v[214:215], v[164:167]// 000000006CE8: D3F300A4 0E93AD06
	v_mfma_f32_16x16x32_fp8_fp8 v[168:171], a[16:17], v[192:193], 0// 000000006CF0: D3F300A8 0A038110
	buffer_load_dwordx4 a[80:83], v45, s[92:95], 0 offen       // 000000006CF8: E05C1000 8097502D
	v_mfma_f32_16x16x32_fp8_fp8 v[168:171], a[18:19], v[194:195], v[168:171]// 000000006D00: D3F300A8 0EA38512
	v_mfma_f32_16x16x32_fp8_fp8 v[168:171], a[20:21], v[196:197], v[168:171]// 000000006D08: D3F300A8 0EA38914
	buffer_load_dword v38, s[20:23], 0 offen lds               // 000000006D10: E0511000 80050026
	s_add_u32 m0, 0x300, s51                                   // 000000006D18: 807C33FF 00000300
	v_mfma_f32_16x16x32_fp8_fp8 v[168:171], a[22:23], v[198:199], v[168:171]// 000000006D20: D3F300A8 0EA38D16
	v_mfma_f32_16x16x32_fp8_fp8 v[172:175], a[16:17], v[208:209], 0// 000000006D28: D3F300AC 0A03A110
	buffer_load_dwordx4 a[84:87], v45, s[92:95], 0 offen offset:1024// 000000006D30: E05C1400 8097542D
	v_mfma_f32_16x16x32_fp8_fp8 v[172:175], a[18:19], v[210:211], v[172:175]// 000000006D38: D3F300AC 0EB3A512
	v_mfma_f32_16x16x32_fp8_fp8 v[172:175], a[20:21], v[212:213], v[172:175]// 000000006D40: D3F300AC 0EB3A914
	buffer_load_dword v39, s[20:23], 0 offen lds               // 000000006D48: E0511000 80050027
	s_add_u32 m0, 0x400, s51                                   // 000000006D50: 807C33FF 00000400
	v_mfma_f32_16x16x32_fp8_fp8 v[172:175], a[22:23], v[214:215], v[172:175]// 000000006D58: D3F300AC 0EB3AD16
	v_mfma_f32_16x16x32_fp8_fp8 v[176:179], a[32:33], v[192:193], 0// 000000006D60: D3F300B0 0A038120
	buffer_load_dwordx4 a[96:99], v46, s[92:95], 0 offen       // 000000006D68: E05C1000 8097602E
	v_mfma_f32_16x16x32_fp8_fp8 v[176:179], a[34:35], v[194:195], v[176:179]// 000000006D70: D3F300B0 0EC38522
	v_mfma_f32_16x16x32_fp8_fp8 v[176:179], a[36:37], v[196:197], v[176:179]// 000000006D78: D3F300B0 0EC38924
	buffer_load_dword v40, s[20:23], 0 offen lds               // 000000006D80: E0511000 80050028
	s_add_u32 m0, 0x500, s51                                   // 000000006D88: 807C33FF 00000500
	v_mfma_f32_16x16x32_fp8_fp8 v[176:179], a[38:39], v[198:199], v[176:179]// 000000006D90: D3F300B0 0EC38D26
	v_mfma_f32_16x16x32_fp8_fp8 v[180:183], a[32:33], v[208:209], 0// 000000006D98: D3F300B4 0A03A120
	buffer_load_dwordx4 a[100:103], v46, s[92:95], 0 offen offset:1024// 000000006DA0: E05C1400 8097642E
	v_mfma_f32_16x16x32_fp8_fp8 v[180:183], a[34:35], v[210:211], v[180:183]// 000000006DA8: D3F300B4 0ED3A522
	v_mfma_f32_16x16x32_fp8_fp8 v[180:183], a[36:37], v[212:213], v[180:183]// 000000006DB0: D3F300B4 0ED3A924
	buffer_load_dword v41, s[20:23], 0 offen lds               // 000000006DB8: E0511000 80050029
	s_add_u32 m0, 0x600, s51                                   // 000000006DC0: 807C33FF 00000600
	v_mfma_f32_16x16x32_fp8_fp8 v[180:183], a[38:39], v[214:215], v[180:183]// 000000006DC8: D3F300B4 0ED3AD26
	v_mfma_f32_16x16x32_fp8_fp8 v[184:187], a[48:49], v[192:193], 0// 000000006DD0: D3F300B8 0A038130
	buffer_load_dwordx4 a[112:115], v47, s[92:95], 0 offen     // 000000006DD8: E05C1000 8097702F
	v_mfma_f32_16x16x32_fp8_fp8 v[184:187], a[50:51], v[194:195], v[184:187]// 000000006DE0: D3F300B8 0EE38532
	v_mfma_f32_16x16x32_fp8_fp8 v[184:187], a[52:53], v[196:197], v[184:187]// 000000006DE8: D3F300B8 0EE38934
	buffer_load_dword v42, s[20:23], 0 offen lds               // 000000006DF0: E0511000 8005002A
	s_add_u32 m0, 0x700, s51                                   // 000000006DF8: 807C33FF 00000700
	v_mfma_f32_16x16x32_fp8_fp8 v[184:187], a[54:55], v[198:199], v[184:187]// 000000006E00: D3F300B8 0EE38D36
	v_mfma_f32_16x16x32_fp8_fp8 v[188:191], a[48:49], v[208:209], 0// 000000006E08: D3F300BC 0A03A130
	buffer_load_dwordx4 a[116:119], v47, s[92:95], 0 offen offset:1024// 000000006E10: E05C1400 8097742F
	v_mfma_f32_16x16x32_fp8_fp8 v[188:191], a[50:51], v[210:211], v[188:191]// 000000006E18: D3F300BC 0EF3A532
	v_mfma_f32_16x16x32_fp8_fp8 v[188:191], a[52:53], v[212:213], v[188:191]// 000000006E20: D3F300BC 0EF3A934
	buffer_load_dword v43, s[20:23], 0 offen lds               // 000000006E28: E0511000 8005002B
	s_add_u32 m0, s51, s76                                     // 000000006E30: 807C4C33
	v_mfma_f32_16x16x32_fp8_fp8 v[188:191], a[54:55], v[214:215], v[188:191]// 000000006E34: D3F300BC 0EF3AD36
	buffer_load_dword v7, s[28:31], 0 offen lds                // 000000006E3C: E0511000 80070007
	s_add_u32 m0, 0, s50                                       // 000000006E44: 807C3280
	buffer_load_dword v24, v13, s[32:35], 0 offen              // 000000006E48: E0501000 8008180D
	v_mul_f32_dpp v56, v23, v15 row_newbcast:0 row_mask:0xf bank_mask:0xf// 000000006E50: 0A701EFA FF015017
	v_mov_b32_e32 v57, v56                                     // 000000006E58: 7E720338
	v_pk_fma_f32 v[128:129], v[160:161], v[56:57], v[128:129]  // 000000006E5C: D3B04080 1E0271A0
	v_pk_fma_f32 v[130:131], v[162:163], v[56:57], v[130:131]  // 000000006E64: D3B04082 1E0A71A2
	v_pk_fma_f32 v[136:137], v[168:169], v[56:57], v[136:137]  // 000000006E6C: D3B04088 1E2271A8
	v_pk_fma_f32 v[138:139], v[170:171], v[56:57], v[138:139]  // 000000006E74: D3B0408A 1E2A71AA
	v_mul_f32_dpp v56, v23, v15 row_newbcast:1 row_mask:0xf bank_mask:0xf// 000000006E7C: 0A701EFA FF015117
	v_mov_b32_e32 v57, v56                                     // 000000006E84: 7E720338
	v_pk_fma_f32 v[144:145], v[176:177], v[56:57], v[144:145]  // 000000006E88: D3B04090 1E4271B0
	v_pk_fma_f32 v[146:147], v[178:179], v[56:57], v[146:147]  // 000000006E90: D3B04092 1E4A71B2
	v_pk_fma_f32 v[152:153], v[184:185], v[56:57], v[152:153]  // 000000006E98: D3B04098 1E6271B8
	v_pk_fma_f32 v[154:155], v[186:187], v[56:57], v[154:155]  // 000000006EA0: D3B0409A 1E6A71BA
	v_mul_f32_dpp v56, v23, v16 row_newbcast:0 row_mask:0xf bank_mask:0xf// 000000006EA8: 0A7020FA FF015017
	v_mov_b32_e32 v57, v56                                     // 000000006EB0: 7E720338
	v_pk_fma_f32 v[132:133], v[164:165], v[56:57], v[132:133]  // 000000006EB4: D3B04084 1E1271A4
	v_pk_fma_f32 v[134:135], v[166:167], v[56:57], v[134:135]  // 000000006EBC: D3B04086 1E1A71A6
	v_pk_fma_f32 v[140:141], v[172:173], v[56:57], v[140:141]  // 000000006EC4: D3B0408C 1E3271AC
	v_pk_fma_f32 v[142:143], v[174:175], v[56:57], v[142:143]  // 000000006ECC: D3B0408E 1E3A71AE
	v_mul_f32_dpp v56, v23, v16 row_newbcast:1 row_mask:0xf bank_mask:0xf// 000000006ED4: 0A7020FA FF015117
	v_mov_b32_e32 v57, v56                                     // 000000006EDC: 7E720338
	v_pk_fma_f32 v[148:149], v[180:181], v[56:57], v[148:149]  // 000000006EE0: D3B04094 1E5271B4
	v_pk_fma_f32 v[150:151], v[182:183], v[56:57], v[150:151]  // 000000006EE8: D3B04096 1E5A71B6
	v_pk_fma_f32 v[156:157], v[188:189], v[56:57], v[156:157]  // 000000006EF0: D3B0409C 1E7271BC
	v_pk_fma_f32 v[158:159], v[190:191], v[56:57], v[158:159]  // 000000006EF8: D3B0409E 1E7A71BE
	s_waitcnt vmcnt(22)                                        // 000000006F00: BF8C4F76
	v_mfma_f32_16x16x32_fp8_fp8 v[160:163], a[8:9], v[200:201], 0// 000000006F04: D3F300A0 0A039108
	buffer_load_dwordx4 a[72:75], v44, s[92:95], 0 offen offset:2048// 000000006F0C: E05C1800 8097482C
	v_mfma_f32_16x16x32_fp8_fp8 v[160:163], a[10:11], v[202:203], v[160:163]// 000000006F14: D3F300A0 0E83950A
	v_mfma_f32_16x16x32_fp8_fp8 v[160:163], a[12:13], v[204:205], v[160:163]// 000000006F1C: D3F300A0 0E83990C
	v_mfma_f32_16x16x32_fp8_fp8 v[160:163], a[14:15], v[206:207], v[160:163]// 000000006F24: D3F300A0 0E839D0E
	v_mfma_f32_16x16x32_fp8_fp8 v[164:167], a[8:9], v[216:217], 0// 000000006F2C: D3F300A4 0A03B108
	buffer_load_dwordx4 a[76:79], v44, s[92:95], 0 offen offset:3072// 000000006F34: E05C1C00 80974C2C
	v_mfma_f32_16x16x32_fp8_fp8 v[164:167], a[10:11], v[218:219], v[164:167]// 000000006F3C: D3F300A4 0E93B50A
	v_mfma_f32_16x16x32_fp8_fp8 v[164:167], a[12:13], v[220:221], v[164:167]// 000000006F44: D3F300A4 0E93B90C
	v_mfma_f32_16x16x32_fp8_fp8 v[164:167], a[14:15], v[222:223], v[164:167]// 000000006F4C: D3F300A4 0E93BD0E
	v_mfma_f32_16x16x32_fp8_fp8 v[168:171], a[24:25], v[200:201], 0// 000000006F54: D3F300A8 0A039118
	buffer_load_dwordx4 a[88:91], v45, s[92:95], 0 offen offset:2048// 000000006F5C: E05C1800 8097582D
	v_mfma_f32_16x16x32_fp8_fp8 v[168:171], a[26:27], v[202:203], v[168:171]// 000000006F64: D3F300A8 0EA3951A
	v_mfma_f32_16x16x32_fp8_fp8 v[168:171], a[28:29], v[204:205], v[168:171]// 000000006F6C: D3F300A8 0EA3991C
	v_mfma_f32_16x16x32_fp8_fp8 v[168:171], a[30:31], v[206:207], v[168:171]// 000000006F74: D3F300A8 0EA39D1E
	v_mfma_f32_16x16x32_fp8_fp8 v[172:175], a[24:25], v[216:217], 0// 000000006F7C: D3F300AC 0A03B118
	buffer_load_dwordx4 a[92:95], v45, s[92:95], 0 offen offset:3072// 000000006F84: E05C1C00 80975C2D
	v_mfma_f32_16x16x32_fp8_fp8 v[172:175], a[26:27], v[218:219], v[172:175]// 000000006F8C: D3F300AC 0EB3B51A
	v_mfma_f32_16x16x32_fp8_fp8 v[172:175], a[28:29], v[220:221], v[172:175]// 000000006F94: D3F300AC 0EB3B91C
	v_mfma_f32_16x16x32_fp8_fp8 v[172:175], a[30:31], v[222:223], v[172:175]// 000000006F9C: D3F300AC 0EB3BD1E
	s_waitcnt vmcnt(22)                                        // 000000006FA4: BF8C4F76
	v_mfma_f32_16x16x32_fp8_fp8 v[176:179], a[40:41], v[200:201], 0// 000000006FA8: D3F300B0 0A039128
	buffer_load_dwordx4 a[104:107], v46, s[92:95], 0 offen offset:2048// 000000006FB0: E05C1800 8097682E
	v_mfma_f32_16x16x32_fp8_fp8 v[176:179], a[42:43], v[202:203], v[176:179]// 000000006FB8: D3F300B0 0EC3952A
	v_mfma_f32_16x16x32_fp8_fp8 v[176:179], a[44:45], v[204:205], v[176:179]// 000000006FC0: D3F300B0 0EC3992C
	v_mfma_f32_16x16x32_fp8_fp8 v[176:179], a[46:47], v[206:207], v[176:179]// 000000006FC8: D3F300B0 0EC39D2E
	v_mfma_f32_16x16x32_fp8_fp8 v[180:183], a[40:41], v[216:217], 0// 000000006FD0: D3F300B4 0A03B128
	buffer_load_dwordx4 a[108:111], v46, s[92:95], 0 offen offset:3072// 000000006FD8: E05C1C00 80976C2E
	v_mfma_f32_16x16x32_fp8_fp8 v[180:183], a[42:43], v[218:219], v[180:183]// 000000006FE0: D3F300B4 0ED3B52A
	v_mfma_f32_16x16x32_fp8_fp8 v[180:183], a[44:45], v[220:221], v[180:183]// 000000006FE8: D3F300B4 0ED3B92C
	v_mfma_f32_16x16x32_fp8_fp8 v[180:183], a[46:47], v[222:223], v[180:183]// 000000006FF0: D3F300B4 0ED3BD2E
	v_mfma_f32_16x16x32_fp8_fp8 v[184:187], a[56:57], v[200:201], 0// 000000006FF8: D3F300B8 0A039138
	buffer_load_dwordx4 a[120:123], v47, s[92:95], 0 offen offset:2048// 000000007000: E05C1800 8097782F
	v_mfma_f32_16x16x32_fp8_fp8 v[184:187], a[58:59], v[202:203], v[184:187]// 000000007008: D3F300B8 0EE3953A
	v_mfma_f32_16x16x32_fp8_fp8 v[184:187], a[60:61], v[204:205], v[184:187]// 000000007010: D3F300B8 0EE3993C
	v_mfma_f32_16x16x32_fp8_fp8 v[184:187], a[62:63], v[206:207], v[184:187]// 000000007018: D3F300B8 0EE39D3E
	v_mfma_f32_16x16x32_fp8_fp8 v[188:191], a[56:57], v[216:217], 0// 000000007020: D3F300BC 0A03B138
	buffer_load_dwordx4 a[124:127], v47, s[92:95], 0 offen offset:3072// 000000007028: E05C1C00 80977C2F
	v_mfma_f32_16x16x32_fp8_fp8 v[188:191], a[58:59], v[218:219], v[188:191]// 000000007030: D3F300BC 0EF3B53A
	v_mfma_f32_16x16x32_fp8_fp8 v[188:191], a[60:61], v[220:221], v[188:191]// 000000007038: D3F300BC 0EF3B93C
	v_mfma_f32_16x16x32_fp8_fp8 v[188:191], a[62:63], v[222:223], v[188:191]// 000000007040: D3F300BC 0EF3BD3E
	v_mul_f32_dpp v56, v23, v17 row_newbcast:2 row_mask:0xf bank_mask:0xf// 000000007048: 0A7022FA FF015217
	v_mov_b32_e32 v57, v56                                     // 000000007050: 7E720338
	v_pk_fma_f32 v[128:129], v[160:161], v[56:57], v[128:129]  // 000000007054: D3B04080 1E0271A0
	v_pk_fma_f32 v[130:131], v[162:163], v[56:57], v[130:131]  // 00000000705C: D3B04082 1E0A71A2
	v_pk_fma_f32 v[136:137], v[168:169], v[56:57], v[136:137]  // 000000007064: D3B04088 1E2271A8
	v_pk_fma_f32 v[138:139], v[170:171], v[56:57], v[138:139]  // 00000000706C: D3B0408A 1E2A71AA
	v_mul_f32_dpp v56, v23, v17 row_newbcast:3 row_mask:0xf bank_mask:0xf// 000000007074: 0A7022FA FF015317
	v_mov_b32_e32 v57, v56                                     // 00000000707C: 7E720338
	v_pk_fma_f32 v[144:145], v[176:177], v[56:57], v[144:145]  // 000000007080: D3B04090 1E4271B0
	v_pk_fma_f32 v[146:147], v[178:179], v[56:57], v[146:147]  // 000000007088: D3B04092 1E4A71B2
	v_pk_fma_f32 v[152:153], v[184:185], v[56:57], v[152:153]  // 000000007090: D3B04098 1E6271B8
	v_pk_fma_f32 v[154:155], v[186:187], v[56:57], v[154:155]  // 000000007098: D3B0409A 1E6A71BA
	v_mul_f32_dpp v56, v23, v18 row_newbcast:2 row_mask:0xf bank_mask:0xf// 0000000070A0: 0A7024FA FF015217
	v_mov_b32_e32 v57, v56                                     // 0000000070A8: 7E720338
	v_pk_fma_f32 v[132:133], v[164:165], v[56:57], v[132:133]  // 0000000070AC: D3B04084 1E1271A4
	v_pk_fma_f32 v[134:135], v[166:167], v[56:57], v[134:135]  // 0000000070B4: D3B04086 1E1A71A6
	v_pk_fma_f32 v[140:141], v[172:173], v[56:57], v[140:141]  // 0000000070BC: D3B0408C 1E3271AC
	v_pk_fma_f32 v[142:143], v[174:175], v[56:57], v[142:143]  // 0000000070C4: D3B0408E 1E3A71AE
	v_mul_f32_dpp v56, v23, v18 row_newbcast:3 row_mask:0xf bank_mask:0xf// 0000000070CC: 0A7024FA FF015317
	v_mov_b32_e32 v57, v56                                     // 0000000070D4: 7E720338
	v_pk_fma_f32 v[148:149], v[180:181], v[56:57], v[148:149]  // 0000000070D8: D3B04094 1E5271B4
	v_pk_fma_f32 v[150:151], v[182:183], v[56:57], v[150:151]  // 0000000070E0: D3B04096 1E5A71B6
	v_pk_fma_f32 v[156:157], v[188:189], v[56:57], v[156:157]  // 0000000070E8: D3B0409C 1E7271BC
	v_pk_fma_f32 v[158:159], v[190:191], v[56:57], v[158:159]  // 0000000070F0: D3B0409E 1E7A71BE
	s_add_u32 s60, 0x100, s80                                  // 0000000070F8: 803C50FF 00000100
	s_cmp_lt_u32 s60, s81                                      // 000000007100: BF0A513C
	s_cselect_b32 s4, s4, 0                                    // 000000007104: 85048004
	s_add_u32 s32, s4, s32                                     // 000000007108: 80202004
	s_addc_u32 s33, 0, s33                                     // 00000000710C: 82212180
	s_waitcnt vmcnt(8)                                         // 000000007110: BF8C0F78
	s_barrier                                                  // 000000007114: BF8A0000
	v_mfma_f32_16x16x32_fp8_fp8 v[96:99], a[64:65], v[192:193], 0// 000000007118: D3F30060 0A038140
	buffer_load_dwordx4 a[0:3], v44, s[24:27], 0 offen         // 000000007120: E05C1000 8086002C
	v_mfma_f32_16x16x32_fp8_fp8 v[96:99], a[66:67], v[194:195], v[96:99]// 000000007128: D3F30060 0D838542
	v_mfma_f32_16x16x32_fp8_fp8 v[96:99], a[68:69], v[196:197], v[96:99]// 000000007130: D3F30060 0D838944
	buffer_load_dword v23, v11, s[32:35], 0 offen              // 000000007138: E0501000 8008170B
	v_mfma_f32_16x16x32_fp8_fp8 v[96:99], a[70:71], v[198:199], v[96:99]// 000000007140: D3F30060 0D838D46
	v_mfma_f32_16x16x32_fp8_fp8 v[100:103], a[64:65], v[208:209], 0// 000000007148: D3F30064 0A03A140
	buffer_load_dwordx4 a[4:7], v44, s[24:27], 0 offen offset:1024// 000000007150: E05C1400 8086042C
	v_mfma_f32_16x16x32_fp8_fp8 v[100:103], a[66:67], v[210:211], v[100:103]// 000000007158: D3F30064 0D93A542
	v_mfma_f32_16x16x32_fp8_fp8 v[100:103], a[68:69], v[212:213], v[100:103]// 000000007160: D3F30064 0D93A944
	v_mfma_f32_16x16x32_fp8_fp8 v[100:103], a[70:71], v[214:215], v[100:103]// 000000007168: D3F30064 0D93AD46
	v_mfma_f32_16x16x32_fp8_fp8 v[104:107], a[80:81], v[192:193], 0// 000000007170: D3F30068 0A038150
	buffer_load_dwordx4 a[16:19], v45, s[24:27], 0 offen       // 000000007178: E05C1000 8086102D
	v_mfma_f32_16x16x32_fp8_fp8 v[104:107], a[82:83], v[194:195], v[104:107]// 000000007180: D3F30068 0DA38552
	v_mfma_f32_16x16x32_fp8_fp8 v[104:107], a[84:85], v[196:197], v[104:107]// 000000007188: D3F30068 0DA38954
	v_mfma_f32_16x16x32_fp8_fp8 v[104:107], a[86:87], v[198:199], v[104:107]// 000000007190: D3F30068 0DA38D56
	v_mfma_f32_16x16x32_fp8_fp8 v[108:111], a[80:81], v[208:209], 0// 000000007198: D3F3006C 0A03A150
	buffer_load_dwordx4 a[20:23], v45, s[24:27], 0 offen offset:1024// 0000000071A0: E05C1400 8086142D
	v_mfma_f32_16x16x32_fp8_fp8 v[108:111], a[82:83], v[210:211], v[108:111]// 0000000071A8: D3F3006C 0DB3A552
	v_mfma_f32_16x16x32_fp8_fp8 v[108:111], a[84:85], v[212:213], v[108:111]// 0000000071B0: D3F3006C 0DB3A954
	v_mfma_f32_16x16x32_fp8_fp8 v[108:111], a[86:87], v[214:215], v[108:111]// 0000000071B8: D3F3006C 0DB3AD56
	v_mfma_f32_16x16x32_fp8_fp8 v[112:115], a[96:97], v[192:193], 0// 0000000071C0: D3F30070 0A038160
	buffer_load_dwordx4 a[32:35], v46, s[24:27], 0 offen       // 0000000071C8: E05C1000 8086202E
	v_mfma_f32_16x16x32_fp8_fp8 v[112:115], a[98:99], v[194:195], v[112:115]// 0000000071D0: D3F30070 0DC38562
	v_mfma_f32_16x16x32_fp8_fp8 v[112:115], a[100:101], v[196:197], v[112:115]// 0000000071D8: D3F30070 0DC38964
	v_mfma_f32_16x16x32_fp8_fp8 v[112:115], a[102:103], v[198:199], v[112:115]// 0000000071E0: D3F30070 0DC38D66
	v_mfma_f32_16x16x32_fp8_fp8 v[116:119], a[96:97], v[208:209], 0// 0000000071E8: D3F30074 0A03A160
	buffer_load_dwordx4 a[36:39], v46, s[24:27], 0 offen offset:1024// 0000000071F0: E05C1400 8086242E
	v_mfma_f32_16x16x32_fp8_fp8 v[116:119], a[98:99], v[210:211], v[116:119]// 0000000071F8: D3F30074 0DD3A562
	v_mfma_f32_16x16x32_fp8_fp8 v[116:119], a[100:101], v[212:213], v[116:119]// 000000007200: D3F30074 0DD3A964
	v_mfma_f32_16x16x32_fp8_fp8 v[116:119], a[102:103], v[214:215], v[116:119]// 000000007208: D3F30074 0DD3AD66
	v_mfma_f32_16x16x32_fp8_fp8 v[120:123], a[112:113], v[192:193], 0// 000000007210: D3F30078 0A038170
	buffer_load_dwordx4 a[48:51], v47, s[24:27], 0 offen       // 000000007218: E05C1000 8086302F
	v_mfma_f32_16x16x32_fp8_fp8 v[120:123], a[114:115], v[194:195], v[120:123]// 000000007220: D3F30078 0DE38572
	v_mfma_f32_16x16x32_fp8_fp8 v[120:123], a[116:117], v[196:197], v[120:123]// 000000007228: D3F30078 0DE38974
	v_mfma_f32_16x16x32_fp8_fp8 v[120:123], a[118:119], v[198:199], v[120:123]// 000000007230: D3F30078 0DE38D76
	v_mfma_f32_16x16x32_fp8_fp8 v[124:127], a[112:113], v[208:209], 0// 000000007238: D3F3007C 0A03A170
	buffer_load_dwordx4 a[52:55], v47, s[24:27], 0 offen offset:1024// 000000007240: E05C1400 8086342F
	v_mfma_f32_16x16x32_fp8_fp8 v[124:127], a[114:115], v[210:211], v[124:127]// 000000007248: D3F3007C 0DF3A572
	v_mfma_f32_16x16x32_fp8_fp8 v[124:127], a[116:117], v[212:213], v[124:127]// 000000007250: D3F3007C 0DF3A974
	v_mfma_f32_16x16x32_fp8_fp8 v[124:127], a[118:119], v[214:215], v[124:127]// 000000007258: D3F3007C 0DF3AD76
	v_mul_f32_dpp v56, v24, v15 row_newbcast:0 row_mask:0xf bank_mask:0xf// 000000007260: 0A701EFA FF015018
	v_mov_b32_e32 v57, v56                                     // 000000007268: 7E720338
	v_pk_fma_f32 v[64:65], v[96:97], v[56:57], v[64:65]        // 00000000726C: D3B04040 1D027160
	v_pk_fma_f32 v[66:67], v[98:99], v[56:57], v[66:67]        // 000000007274: D3B04042 1D0A7162
	v_pk_fma_f32 v[72:73], v[104:105], v[56:57], v[72:73]      // 00000000727C: D3B04048 1D227168
	v_pk_fma_f32 v[74:75], v[106:107], v[56:57], v[74:75]      // 000000007284: D3B0404A 1D2A716A
	v_mul_f32_dpp v56, v24, v15 row_newbcast:1 row_mask:0xf bank_mask:0xf// 00000000728C: 0A701EFA FF015118
	v_mov_b32_e32 v57, v56                                     // 000000007294: 7E720338
	v_pk_fma_f32 v[80:81], v[112:113], v[56:57], v[80:81]      // 000000007298: D3B04050 1D427170
	v_pk_fma_f32 v[82:83], v[114:115], v[56:57], v[82:83]      // 0000000072A0: D3B04052 1D4A7172
	v_pk_fma_f32 v[88:89], v[120:121], v[56:57], v[88:89]      // 0000000072A8: D3B04058 1D627178
	v_pk_fma_f32 v[90:91], v[122:123], v[56:57], v[90:91]      // 0000000072B0: D3B0405A 1D6A717A
	v_mul_f32_dpp v56, v24, v16 row_newbcast:0 row_mask:0xf bank_mask:0xf// 0000000072B8: 0A7020FA FF015018
	v_mov_b32_e32 v57, v56                                     // 0000000072C0: 7E720338
	v_pk_fma_f32 v[68:69], v[100:101], v[56:57], v[68:69]      // 0000000072C4: D3B04044 1D127164
	v_pk_fma_f32 v[70:71], v[102:103], v[56:57], v[70:71]      // 0000000072CC: D3B04046 1D1A7166
	v_pk_fma_f32 v[76:77], v[108:109], v[56:57], v[76:77]      // 0000000072D4: D3B0404C 1D32716C
	v_pk_fma_f32 v[78:79], v[110:111], v[56:57], v[78:79]      // 0000000072DC: D3B0404E 1D3A716E
	v_mul_f32_dpp v56, v24, v16 row_newbcast:1 row_mask:0xf bank_mask:0xf// 0000000072E4: 0A7020FA FF015118
	v_mov_b32_e32 v57, v56                                     // 0000000072EC: 7E720338
	v_pk_fma_f32 v[84:85], v[116:117], v[56:57], v[84:85]      // 0000000072F0: D3B04054 1D527174
	v_pk_fma_f32 v[86:87], v[118:119], v[56:57], v[86:87]      // 0000000072F8: D3B04056 1D5A7176
	v_pk_fma_f32 v[92:93], v[124:125], v[56:57], v[92:93]      // 000000007300: D3B0405C 1D72717C
	v_pk_fma_f32 v[94:95], v[126:127], v[56:57], v[94:95]      // 000000007308: D3B0405E 1D7A717E
	s_waitcnt vmcnt(13)                                        // 000000007310: BF8C0F7D
	v_mfma_f32_16x16x32_fp8_fp8 v[96:99], a[72:73], v[200:201], 0// 000000007314: D3F30060 0A039148
	buffer_load_dwordx4 a[8:11], v44, s[24:27], 0 offen offset:2048// 00000000731C: E05C1800 8086082C
	v_mfma_f32_16x16x32_fp8_fp8 v[96:99], a[74:75], v[202:203], v[96:99]// 000000007324: D3F30060 0D83954A
	v_mfma_f32_16x16x32_fp8_fp8 v[96:99], a[76:77], v[204:205], v[96:99]// 00000000732C: D3F30060 0D83994C
	ds_read_b128 v[224:227], v2 offset:9344                    // 000000007334: D9FE2480 E0000002
	ds_read_b32 v19, v3 offset:17664                           // 00000000733C: D86C4500 13000003
	v_mfma_f32_16x16x32_fp8_fp8 v[96:99], a[78:79], v[206:207], v[96:99]// 000000007344: D3F30060 0D839D4E
	v_mfma_f32_16x16x32_fp8_fp8 v[100:103], a[72:73], v[216:217], 0// 00000000734C: D3F30064 0A03B148
	buffer_load_dwordx4 a[12:15], v44, s[24:27], 0 offen offset:3072// 000000007354: E05C1C00 80860C2C
	v_mfma_f32_16x16x32_fp8_fp8 v[100:103], a[74:75], v[218:219], v[100:103]// 00000000735C: D3F30064 0D93B54A
	v_mfma_f32_16x16x32_fp8_fp8 v[100:103], a[76:77], v[220:221], v[100:103]// 000000007364: D3F30064 0D93B94C
	ds_read_b128 v[228:231], v2 offset:9408                    // 00000000736C: D9FE24C0 E4000002
	ds_read_b32 v20, v3 offset:17920                           // 000000007374: D86C4600 14000003
	v_mfma_f32_16x16x32_fp8_fp8 v[100:103], a[78:79], v[222:223], v[100:103]// 00000000737C: D3F30064 0D93BD4E
	v_mfma_f32_16x16x32_fp8_fp8 v[104:107], a[88:89], v[200:201], 0// 000000007384: D3F30068 0A039158
	buffer_load_dwordx4 a[24:27], v45, s[24:27], 0 offen offset:2048// 00000000738C: E05C1800 8086182D
	v_mfma_f32_16x16x32_fp8_fp8 v[104:107], a[90:91], v[202:203], v[104:107]// 000000007394: D3F30068 0DA3955A
	v_mfma_f32_16x16x32_fp8_fp8 v[104:107], a[92:93], v[204:205], v[104:107]// 00000000739C: D3F30068 0DA3995C
	ds_read_b128 v[232:235], v2 offset:9472                    // 0000000073A4: D9FE2500 E8000002
	ds_read_b32 v21, v3 offset:18176                           // 0000000073AC: D86C4700 15000003
	v_mfma_f32_16x16x32_fp8_fp8 v[104:107], a[94:95], v[206:207], v[104:107]// 0000000073B4: D3F30068 0DA39D5E
	v_mfma_f32_16x16x32_fp8_fp8 v[108:111], a[88:89], v[216:217], 0// 0000000073BC: D3F3006C 0A03B158
	buffer_load_dwordx4 a[28:31], v45, s[24:27], 0 offen offset:3072// 0000000073C4: E05C1C00 80861C2D
	v_mfma_f32_16x16x32_fp8_fp8 v[108:111], a[90:91], v[218:219], v[108:111]// 0000000073CC: D3F3006C 0DB3B55A
	v_mfma_f32_16x16x32_fp8_fp8 v[108:111], a[92:93], v[220:221], v[108:111]// 0000000073D4: D3F3006C 0DB3B95C
	ds_read_b128 v[236:239], v2 offset:9536                    // 0000000073DC: D9FE2540 EC000002
	ds_read_b32 v22, v3 offset:18432                           // 0000000073E4: D86C4800 16000003
	v_mfma_f32_16x16x32_fp8_fp8 v[108:111], a[94:95], v[222:223], v[108:111]// 0000000073EC: D3F3006C 0DB3BD5E
	s_waitcnt vmcnt(13)                                        // 0000000073F4: BF8C0F7D
	v_mfma_f32_16x16x32_fp8_fp8 v[112:115], a[104:105], v[200:201], 0// 0000000073F8: D3F30070 0A039168
	buffer_load_dwordx4 a[40:43], v46, s[24:27], 0 offen offset:2048// 000000007400: E05C1800 8086282E
	v_mfma_f32_16x16x32_fp8_fp8 v[112:115], a[106:107], v[202:203], v[112:115]// 000000007408: D3F30070 0DC3956A
	v_mfma_f32_16x16x32_fp8_fp8 v[112:115], a[108:109], v[204:205], v[112:115]// 000000007410: D3F30070 0DC3996C
	ds_read_b128 v[240:243], v2 offset:10368                   // 000000007418: D9FE2880 F0000002
	v_mfma_f32_16x16x32_fp8_fp8 v[112:115], a[110:111], v[206:207], v[112:115]// 000000007420: D3F30070 0DC39D6E
	v_mfma_f32_16x16x32_fp8_fp8 v[116:119], a[104:105], v[216:217], 0// 000000007428: D3F30074 0A03B168
	buffer_load_dwordx4 a[44:47], v46, s[24:27], 0 offen offset:3072// 000000007430: E05C1C00 80862C2E
	v_mfma_f32_16x16x32_fp8_fp8 v[116:119], a[106:107], v[218:219], v[116:119]// 000000007438: D3F30074 0DD3B56A
	v_mfma_f32_16x16x32_fp8_fp8 v[116:119], a[108:109], v[220:221], v[116:119]// 000000007440: D3F30074 0DD3B96C
	ds_read_b128 v[244:247], v2 offset:10432                   // 000000007448: D9FE28C0 F4000002
	v_mfma_f32_16x16x32_fp8_fp8 v[116:119], a[110:111], v[222:223], v[116:119]// 000000007450: D3F30074 0DD3BD6E
	v_mfma_f32_16x16x32_fp8_fp8 v[120:123], a[120:121], v[200:201], 0// 000000007458: D3F30078 0A039178
	buffer_load_dwordx4 a[56:59], v47, s[24:27], 0 offen offset:2048// 000000007460: E05C1800 8086382F
	v_mfma_f32_16x16x32_fp8_fp8 v[120:123], a[122:123], v[202:203], v[120:123]// 000000007468: D3F30078 0DE3957A
	v_mfma_f32_16x16x32_fp8_fp8 v[120:123], a[124:125], v[204:205], v[120:123]// 000000007470: D3F30078 0DE3997C
	ds_read_b128 v[248:251], v2 offset:10496                   // 000000007478: D9FE2900 F8000002
	v_mfma_f32_16x16x32_fp8_fp8 v[120:123], a[126:127], v[206:207], v[120:123]// 000000007480: D3F30078 0DE39D7E
	v_mfma_f32_16x16x32_fp8_fp8 v[124:127], a[120:121], v[216:217], 0// 000000007488: D3F3007C 0A03B178
	buffer_load_dwordx4 a[60:63], v47, s[24:27], 0 offen offset:3072// 000000007490: E05C1C00 80863C2F
	v_mfma_f32_16x16x32_fp8_fp8 v[124:127], a[122:123], v[218:219], v[124:127]// 000000007498: D3F3007C 0DF3B57A
	v_mfma_f32_16x16x32_fp8_fp8 v[124:127], a[124:125], v[220:221], v[124:127]// 0000000074A0: D3F3007C 0DF3B97C
	ds_read_b128 v[252:255], v2 offset:10560                   // 0000000074A8: D9FE2940 FC000002
	v_mfma_f32_16x16x32_fp8_fp8 v[124:127], a[126:127], v[222:223], v[124:127]// 0000000074B0: D3F3007C 0DF3BD7E
	v_mul_f32_dpp v56, v24, v17 row_newbcast:2 row_mask:0xf bank_mask:0xf// 0000000074B8: 0A7022FA FF015218
	v_mov_b32_e32 v57, v56                                     // 0000000074C0: 7E720338
	v_pk_fma_f32 v[64:65], v[96:97], v[56:57], v[64:65]        // 0000000074C4: D3B04040 1D027160
	v_pk_fma_f32 v[66:67], v[98:99], v[56:57], v[66:67]        // 0000000074CC: D3B04042 1D0A7162
	v_pk_fma_f32 v[72:73], v[104:105], v[56:57], v[72:73]      // 0000000074D4: D3B04048 1D227168
	v_pk_fma_f32 v[74:75], v[106:107], v[56:57], v[74:75]      // 0000000074DC: D3B0404A 1D2A716A
	v_mul_f32_dpp v56, v24, v17 row_newbcast:3 row_mask:0xf bank_mask:0xf// 0000000074E4: 0A7022FA FF015318
	v_mov_b32_e32 v57, v56                                     // 0000000074EC: 7E720338
	v_pk_fma_f32 v[80:81], v[112:113], v[56:57], v[80:81]      // 0000000074F0: D3B04050 1D427170
	v_pk_fma_f32 v[82:83], v[114:115], v[56:57], v[82:83]      // 0000000074F8: D3B04052 1D4A7172
	v_pk_fma_f32 v[88:89], v[120:121], v[56:57], v[88:89]      // 000000007500: D3B04058 1D627178
	v_pk_fma_f32 v[90:91], v[122:123], v[56:57], v[90:91]      // 000000007508: D3B0405A 1D6A717A
	v_mul_f32_dpp v56, v24, v18 row_newbcast:2 row_mask:0xf bank_mask:0xf// 000000007510: 0A7024FA FF015218
	v_mov_b32_e32 v57, v56                                     // 000000007518: 7E720338
	v_pk_fma_f32 v[68:69], v[100:101], v[56:57], v[68:69]      // 00000000751C: D3B04044 1D127164
	v_pk_fma_f32 v[70:71], v[102:103], v[56:57], v[70:71]      // 000000007524: D3B04046 1D1A7166
	v_pk_fma_f32 v[76:77], v[108:109], v[56:57], v[76:77]      // 00000000752C: D3B0404C 1D32716C
	v_pk_fma_f32 v[78:79], v[110:111], v[56:57], v[78:79]      // 000000007534: D3B0404E 1D3A716E
	v_mul_f32_dpp v56, v24, v18 row_newbcast:3 row_mask:0xf bank_mask:0xf// 00000000753C: 0A7024FA FF015318
	v_mov_b32_e32 v57, v56                                     // 000000007544: 7E720338
	v_pk_fma_f32 v[84:85], v[116:117], v[56:57], v[84:85]      // 000000007548: D3B04054 1D527174
	v_pk_fma_f32 v[86:87], v[118:119], v[56:57], v[86:87]      // 000000007550: D3B04056 1D5A7176
	v_pk_fma_f32 v[92:93], v[124:125], v[56:57], v[92:93]      // 000000007558: D3B0405C 1D72717C
	v_pk_fma_f32 v[94:95], v[126:127], v[56:57], v[94:95]      // 000000007560: D3B0405E 1D7A717E
	s_add_u32 s60, 0x200, s80                                  // 000000007568: 803C50FF 00000200
	s_cmp_lt_u32 s60, s81                                      // 000000007570: BF0A513C
	s_cselect_b32 s57, s57, 0                                  // 000000007574: 85398039
	s_cselect_b32 s3, s3, 0                                    // 000000007578: 85038003
	s_add_u32 s60, 0x200, s80                                  // 00000000757C: 803C50FF 00000200
	s_cmp_lt_u32 s60, s81                                      // 000000007584: BF0A513C
	s_cselect_b32 s58, s58, 0                                  // 000000007588: 853A803A
	s_add_u32 s20, s57, s20                                    // 00000000758C: 80141439
	s_addc_u32 s21, 0, s21                                     // 000000007590: 82151580
	s_add_u32 s28, s3, s28                                     // 000000007594: 801C1C03
	s_addc_u32 s29, 0, s29                                     // 000000007598: 821D1D80
	s_add_u32 s24, s58, s24                                    // 00000000759C: 8018183A
	s_addc_u32 s25, 0, s25                                     // 0000000075A0: 82191980
	s_add_u32 s92, s90, s92                                    // 0000000075A4: 805C5C5A
	s_addc_u32 s93, 0, s93                                     // 0000000075A8: 825D5D80
	s_addk_i32 s80, 0x100                                      // 0000000075AC: B7500100
	s_cmp_lt_i32 s80, s81                                      // 0000000075B0: BF045150
	s_cbranch_scc0 label_143F                                  // 0000000075B4: BF840251
	s_waitcnt vmcnt(8) lgkmcnt(0)                              // 0000000075B8: BF8C0078
	s_barrier                                                  // 0000000075BC: BF8A0000
	v_mfma_f32_16x16x32_fp8_fp8 v[160:163], a[0:1], v[224:225], 0// 0000000075C0: D3F300A0 0A03C100
	buffer_load_dwordx4 a[64:67], v44, s[92:95], 0 offen       // 0000000075C8: E05C1000 8097402C
	v_mfma_f32_16x16x32_fp8_fp8 v[160:163], a[2:3], v[226:227], v[160:163]// 0000000075D0: D3F300A0 0E83C502
	v_mfma_f32_16x16x32_fp8_fp8 v[160:163], a[4:5], v[228:229], v[160:163]// 0000000075D8: D3F300A0 0E83C904
	buffer_load_dword v36, s[20:23], 0 offen lds               // 0000000075E0: E0511000 80050024
	s_add_u32 m0, 0x100, s50                                   // 0000000075E8: 807C32FF 00000100
	v_mfma_f32_16x16x32_fp8_fp8 v[160:163], a[6:7], v[230:231], v[160:163]// 0000000075F0: D3F300A0 0E83CD06
	v_mfma_f32_16x16x32_fp8_fp8 v[164:167], a[0:1], v[240:241], 0// 0000000075F8: D3F300A4 0A03E100
	buffer_load_dwordx4 a[68:71], v44, s[92:95], 0 offen offset:1024// 000000007600: E05C1400 8097442C
	v_mfma_f32_16x16x32_fp8_fp8 v[164:167], a[2:3], v[242:243], v[164:167]// 000000007608: D3F300A4 0E93E502
	v_mfma_f32_16x16x32_fp8_fp8 v[164:167], a[4:5], v[244:245], v[164:167]// 000000007610: D3F300A4 0E93E904
	buffer_load_dword v37, s[20:23], 0 offen lds               // 000000007618: E0511000 80050025
	s_add_u32 m0, 0x200, s50                                   // 000000007620: 807C32FF 00000200
	v_mfma_f32_16x16x32_fp8_fp8 v[164:167], a[6:7], v[246:247], v[164:167]// 000000007628: D3F300A4 0E93ED06
	v_mfma_f32_16x16x32_fp8_fp8 v[168:171], a[16:17], v[224:225], 0// 000000007630: D3F300A8 0A03C110
	buffer_load_dwordx4 a[80:83], v45, s[92:95], 0 offen       // 000000007638: E05C1000 8097502D
	v_mfma_f32_16x16x32_fp8_fp8 v[168:171], a[18:19], v[226:227], v[168:171]// 000000007640: D3F300A8 0EA3C512
	v_mfma_f32_16x16x32_fp8_fp8 v[168:171], a[20:21], v[228:229], v[168:171]// 000000007648: D3F300A8 0EA3C914
	buffer_load_dword v38, s[20:23], 0 offen lds               // 000000007650: E0511000 80050026
	s_add_u32 m0, 0x300, s50                                   // 000000007658: 807C32FF 00000300
	v_mfma_f32_16x16x32_fp8_fp8 v[168:171], a[22:23], v[230:231], v[168:171]// 000000007660: D3F300A8 0EA3CD16
	v_mfma_f32_16x16x32_fp8_fp8 v[172:175], a[16:17], v[240:241], 0// 000000007668: D3F300AC 0A03E110
	buffer_load_dwordx4 a[84:87], v45, s[92:95], 0 offen offset:1024// 000000007670: E05C1400 8097542D
	v_mfma_f32_16x16x32_fp8_fp8 v[172:175], a[18:19], v[242:243], v[172:175]// 000000007678: D3F300AC 0EB3E512
	v_mfma_f32_16x16x32_fp8_fp8 v[172:175], a[20:21], v[244:245], v[172:175]// 000000007680: D3F300AC 0EB3E914
	buffer_load_dword v39, s[20:23], 0 offen lds               // 000000007688: E0511000 80050027
	s_add_u32 m0, 0x400, s50                                   // 000000007690: 807C32FF 00000400
	v_mfma_f32_16x16x32_fp8_fp8 v[172:175], a[22:23], v[246:247], v[172:175]// 000000007698: D3F300AC 0EB3ED16
	v_mfma_f32_16x16x32_fp8_fp8 v[176:179], a[32:33], v[224:225], 0// 0000000076A0: D3F300B0 0A03C120
	buffer_load_dwordx4 a[96:99], v46, s[92:95], 0 offen       // 0000000076A8: E05C1000 8097602E
	v_mfma_f32_16x16x32_fp8_fp8 v[176:179], a[34:35], v[226:227], v[176:179]// 0000000076B0: D3F300B0 0EC3C522
	v_mfma_f32_16x16x32_fp8_fp8 v[176:179], a[36:37], v[228:229], v[176:179]// 0000000076B8: D3F300B0 0EC3C924
	buffer_load_dword v40, s[20:23], 0 offen lds               // 0000000076C0: E0511000 80050028
	s_add_u32 m0, 0x500, s50                                   // 0000000076C8: 807C32FF 00000500
	v_mfma_f32_16x16x32_fp8_fp8 v[176:179], a[38:39], v[230:231], v[176:179]// 0000000076D0: D3F300B0 0EC3CD26
	v_mfma_f32_16x16x32_fp8_fp8 v[180:183], a[32:33], v[240:241], 0// 0000000076D8: D3F300B4 0A03E120
	buffer_load_dwordx4 a[100:103], v46, s[92:95], 0 offen offset:1024// 0000000076E0: E05C1400 8097642E
	v_mfma_f32_16x16x32_fp8_fp8 v[180:183], a[34:35], v[242:243], v[180:183]// 0000000076E8: D3F300B4 0ED3E522
	v_mfma_f32_16x16x32_fp8_fp8 v[180:183], a[36:37], v[244:245], v[180:183]// 0000000076F0: D3F300B4 0ED3E924
	buffer_load_dword v41, s[20:23], 0 offen lds               // 0000000076F8: E0511000 80050029
	s_add_u32 m0, 0x600, s50                                   // 000000007700: 807C32FF 00000600
	v_mfma_f32_16x16x32_fp8_fp8 v[180:183], a[38:39], v[246:247], v[180:183]// 000000007708: D3F300B4 0ED3ED26
	v_mfma_f32_16x16x32_fp8_fp8 v[184:187], a[48:49], v[224:225], 0// 000000007710: D3F300B8 0A03C130
	buffer_load_dwordx4 a[112:115], v47, s[92:95], 0 offen     // 000000007718: E05C1000 8097702F
	v_mfma_f32_16x16x32_fp8_fp8 v[184:187], a[50:51], v[226:227], v[184:187]// 000000007720: D3F300B8 0EE3C532
	v_mfma_f32_16x16x32_fp8_fp8 v[184:187], a[52:53], v[228:229], v[184:187]// 000000007728: D3F300B8 0EE3C934
	buffer_load_dword v42, s[20:23], 0 offen lds               // 000000007730: E0511000 8005002A
	s_add_u32 m0, 0x700, s50                                   // 000000007738: 807C32FF 00000700
	v_mfma_f32_16x16x32_fp8_fp8 v[184:187], a[54:55], v[230:231], v[184:187]// 000000007740: D3F300B8 0EE3CD36
	v_mfma_f32_16x16x32_fp8_fp8 v[188:191], a[48:49], v[240:241], 0// 000000007748: D3F300BC 0A03E130
	buffer_load_dwordx4 a[116:119], v47, s[92:95], 0 offen offset:1024// 000000007750: E05C1400 8097742F
	v_mfma_f32_16x16x32_fp8_fp8 v[188:191], a[50:51], v[242:243], v[188:191]// 000000007758: D3F300BC 0EF3E532
	v_mfma_f32_16x16x32_fp8_fp8 v[188:191], a[52:53], v[244:245], v[188:191]// 000000007760: D3F300BC 0EF3E934
	buffer_load_dword v43, s[20:23], 0 offen lds               // 000000007768: E0511000 8005002B
	s_add_u32 m0, s50, s76                                     // 000000007770: 807C4C32
	v_mfma_f32_16x16x32_fp8_fp8 v[188:191], a[54:55], v[246:247], v[188:191]// 000000007774: D3F300BC 0EF3ED36
	buffer_load_dword v7, s[28:31], 0 offen lds                // 00000000777C: E0511000 80070007
	s_add_u32 m0, 0, s51                                       // 000000007784: 807C3380
	buffer_load_dword v24, v13, s[32:35], 0 offen              // 000000007788: E0501000 8008180D
	v_mul_f32_dpp v56, v23, v19 row_newbcast:0 row_mask:0xf bank_mask:0xf// 000000007790: 0A7026FA FF015017
	v_mov_b32_e32 v57, v56                                     // 000000007798: 7E720338
	v_pk_fma_f32 v[128:129], v[160:161], v[56:57], v[128:129]  // 00000000779C: D3B04080 1E0271A0
	v_pk_fma_f32 v[130:131], v[162:163], v[56:57], v[130:131]  // 0000000077A4: D3B04082 1E0A71A2
	v_pk_fma_f32 v[136:137], v[168:169], v[56:57], v[136:137]  // 0000000077AC: D3B04088 1E2271A8
	v_pk_fma_f32 v[138:139], v[170:171], v[56:57], v[138:139]  // 0000000077B4: D3B0408A 1E2A71AA
	v_mul_f32_dpp v56, v23, v19 row_newbcast:1 row_mask:0xf bank_mask:0xf// 0000000077BC: 0A7026FA FF015117
	v_mov_b32_e32 v57, v56                                     // 0000000077C4: 7E720338
	v_pk_fma_f32 v[144:145], v[176:177], v[56:57], v[144:145]  // 0000000077C8: D3B04090 1E4271B0
	v_pk_fma_f32 v[146:147], v[178:179], v[56:57], v[146:147]  // 0000000077D0: D3B04092 1E4A71B2
	v_pk_fma_f32 v[152:153], v[184:185], v[56:57], v[152:153]  // 0000000077D8: D3B04098 1E6271B8
	v_pk_fma_f32 v[154:155], v[186:187], v[56:57], v[154:155]  // 0000000077E0: D3B0409A 1E6A71BA
	v_mul_f32_dpp v56, v23, v20 row_newbcast:0 row_mask:0xf bank_mask:0xf// 0000000077E8: 0A7028FA FF015017
	v_mov_b32_e32 v57, v56                                     // 0000000077F0: 7E720338
	v_pk_fma_f32 v[132:133], v[164:165], v[56:57], v[132:133]  // 0000000077F4: D3B04084 1E1271A4
	v_pk_fma_f32 v[134:135], v[166:167], v[56:57], v[134:135]  // 0000000077FC: D3B04086 1E1A71A6
	v_pk_fma_f32 v[140:141], v[172:173], v[56:57], v[140:141]  // 000000007804: D3B0408C 1E3271AC
	v_pk_fma_f32 v[142:143], v[174:175], v[56:57], v[142:143]  // 00000000780C: D3B0408E 1E3A71AE
	v_mul_f32_dpp v56, v23, v20 row_newbcast:1 row_mask:0xf bank_mask:0xf// 000000007814: 0A7028FA FF015117
	v_mov_b32_e32 v57, v56                                     // 00000000781C: 7E720338
	v_pk_fma_f32 v[148:149], v[180:181], v[56:57], v[148:149]  // 000000007820: D3B04094 1E5271B4
	v_pk_fma_f32 v[150:151], v[182:183], v[56:57], v[150:151]  // 000000007828: D3B04096 1E5A71B6
	v_pk_fma_f32 v[156:157], v[188:189], v[56:57], v[156:157]  // 000000007830: D3B0409C 1E7271BC
	v_pk_fma_f32 v[158:159], v[190:191], v[56:57], v[158:159]  // 000000007838: D3B0409E 1E7A71BE
	s_waitcnt vmcnt(22)                                        // 000000007840: BF8C4F76
	v_mfma_f32_16x16x32_fp8_fp8 v[160:163], a[8:9], v[232:233], 0// 000000007844: D3F300A0 0A03D108
	buffer_load_dwordx4 a[72:75], v44, s[92:95], 0 offen offset:2048// 00000000784C: E05C1800 8097482C
	v_mfma_f32_16x16x32_fp8_fp8 v[160:163], a[10:11], v[234:235], v[160:163]// 000000007854: D3F300A0 0E83D50A
	v_mfma_f32_16x16x32_fp8_fp8 v[160:163], a[12:13], v[236:237], v[160:163]// 00000000785C: D3F300A0 0E83D90C
	v_mfma_f32_16x16x32_fp8_fp8 v[160:163], a[14:15], v[238:239], v[160:163]// 000000007864: D3F300A0 0E83DD0E
	v_mfma_f32_16x16x32_fp8_fp8 v[164:167], a[8:9], v[248:249], 0// 00000000786C: D3F300A4 0A03F108
	buffer_load_dwordx4 a[76:79], v44, s[92:95], 0 offen offset:3072// 000000007874: E05C1C00 80974C2C
	v_mfma_f32_16x16x32_fp8_fp8 v[164:167], a[10:11], v[250:251], v[164:167]// 00000000787C: D3F300A4 0E93F50A
	v_mfma_f32_16x16x32_fp8_fp8 v[164:167], a[12:13], v[252:253], v[164:167]// 000000007884: D3F300A4 0E93F90C
	v_mfma_f32_16x16x32_fp8_fp8 v[164:167], a[14:15], v[254:255], v[164:167]// 00000000788C: D3F300A4 0E93FD0E
	v_mfma_f32_16x16x32_fp8_fp8 v[168:171], a[24:25], v[232:233], 0// 000000007894: D3F300A8 0A03D118
	buffer_load_dwordx4 a[88:91], v45, s[92:95], 0 offen offset:2048// 00000000789C: E05C1800 8097582D
	v_mfma_f32_16x16x32_fp8_fp8 v[168:171], a[26:27], v[234:235], v[168:171]// 0000000078A4: D3F300A8 0EA3D51A
	v_mfma_f32_16x16x32_fp8_fp8 v[168:171], a[28:29], v[236:237], v[168:171]// 0000000078AC: D3F300A8 0EA3D91C
	v_mfma_f32_16x16x32_fp8_fp8 v[168:171], a[30:31], v[238:239], v[168:171]// 0000000078B4: D3F300A8 0EA3DD1E
	v_mfma_f32_16x16x32_fp8_fp8 v[172:175], a[24:25], v[248:249], 0// 0000000078BC: D3F300AC 0A03F118
	buffer_load_dwordx4 a[92:95], v45, s[92:95], 0 offen offset:3072// 0000000078C4: E05C1C00 80975C2D
	v_mfma_f32_16x16x32_fp8_fp8 v[172:175], a[26:27], v[250:251], v[172:175]// 0000000078CC: D3F300AC 0EB3F51A
	v_mfma_f32_16x16x32_fp8_fp8 v[172:175], a[28:29], v[252:253], v[172:175]// 0000000078D4: D3F300AC 0EB3F91C
	v_mfma_f32_16x16x32_fp8_fp8 v[172:175], a[30:31], v[254:255], v[172:175]// 0000000078DC: D3F300AC 0EB3FD1E
	s_waitcnt vmcnt(22)                                        // 0000000078E4: BF8C4F76
	v_mfma_f32_16x16x32_fp8_fp8 v[176:179], a[40:41], v[232:233], 0// 0000000078E8: D3F300B0 0A03D128
	buffer_load_dwordx4 a[104:107], v46, s[92:95], 0 offen offset:2048// 0000000078F0: E05C1800 8097682E
	v_mfma_f32_16x16x32_fp8_fp8 v[176:179], a[42:43], v[234:235], v[176:179]// 0000000078F8: D3F300B0 0EC3D52A
	v_mfma_f32_16x16x32_fp8_fp8 v[176:179], a[44:45], v[236:237], v[176:179]// 000000007900: D3F300B0 0EC3D92C
	v_mfma_f32_16x16x32_fp8_fp8 v[176:179], a[46:47], v[238:239], v[176:179]// 000000007908: D3F300B0 0EC3DD2E
	v_mfma_f32_16x16x32_fp8_fp8 v[180:183], a[40:41], v[248:249], 0// 000000007910: D3F300B4 0A03F128
	buffer_load_dwordx4 a[108:111], v46, s[92:95], 0 offen offset:3072// 000000007918: E05C1C00 80976C2E
	v_mfma_f32_16x16x32_fp8_fp8 v[180:183], a[42:43], v[250:251], v[180:183]// 000000007920: D3F300B4 0ED3F52A
	v_mfma_f32_16x16x32_fp8_fp8 v[180:183], a[44:45], v[252:253], v[180:183]// 000000007928: D3F300B4 0ED3F92C
	v_mfma_f32_16x16x32_fp8_fp8 v[180:183], a[46:47], v[254:255], v[180:183]// 000000007930: D3F300B4 0ED3FD2E
	v_mfma_f32_16x16x32_fp8_fp8 v[184:187], a[56:57], v[232:233], 0// 000000007938: D3F300B8 0A03D138
	buffer_load_dwordx4 a[120:123], v47, s[92:95], 0 offen offset:2048// 000000007940: E05C1800 8097782F
	v_mfma_f32_16x16x32_fp8_fp8 v[184:187], a[58:59], v[234:235], v[184:187]// 000000007948: D3F300B8 0EE3D53A
	v_mfma_f32_16x16x32_fp8_fp8 v[184:187], a[60:61], v[236:237], v[184:187]// 000000007950: D3F300B8 0EE3D93C
	v_mfma_f32_16x16x32_fp8_fp8 v[184:187], a[62:63], v[238:239], v[184:187]// 000000007958: D3F300B8 0EE3DD3E
	v_mfma_f32_16x16x32_fp8_fp8 v[188:191], a[56:57], v[248:249], 0// 000000007960: D3F300BC 0A03F138
	buffer_load_dwordx4 a[124:127], v47, s[92:95], 0 offen offset:3072// 000000007968: E05C1C00 80977C2F
	v_mfma_f32_16x16x32_fp8_fp8 v[188:191], a[58:59], v[250:251], v[188:191]// 000000007970: D3F300BC 0EF3F53A
	v_mfma_f32_16x16x32_fp8_fp8 v[188:191], a[60:61], v[252:253], v[188:191]// 000000007978: D3F300BC 0EF3F93C
	v_mfma_f32_16x16x32_fp8_fp8 v[188:191], a[62:63], v[254:255], v[188:191]// 000000007980: D3F300BC 0EF3FD3E
	v_mul_f32_dpp v56, v23, v21 row_newbcast:2 row_mask:0xf bank_mask:0xf// 000000007988: 0A702AFA FF015217
	v_mov_b32_e32 v57, v56                                     // 000000007990: 7E720338
	v_pk_fma_f32 v[128:129], v[160:161], v[56:57], v[128:129]  // 000000007994: D3B04080 1E0271A0
	v_pk_fma_f32 v[130:131], v[162:163], v[56:57], v[130:131]  // 00000000799C: D3B04082 1E0A71A2
	v_pk_fma_f32 v[136:137], v[168:169], v[56:57], v[136:137]  // 0000000079A4: D3B04088 1E2271A8
	v_pk_fma_f32 v[138:139], v[170:171], v[56:57], v[138:139]  // 0000000079AC: D3B0408A 1E2A71AA
	v_mul_f32_dpp v56, v23, v21 row_newbcast:3 row_mask:0xf bank_mask:0xf// 0000000079B4: 0A702AFA FF015317
	v_mov_b32_e32 v57, v56                                     // 0000000079BC: 7E720338
	v_pk_fma_f32 v[144:145], v[176:177], v[56:57], v[144:145]  // 0000000079C0: D3B04090 1E4271B0
	v_pk_fma_f32 v[146:147], v[178:179], v[56:57], v[146:147]  // 0000000079C8: D3B04092 1E4A71B2
	v_pk_fma_f32 v[152:153], v[184:185], v[56:57], v[152:153]  // 0000000079D0: D3B04098 1E6271B8
	v_pk_fma_f32 v[154:155], v[186:187], v[56:57], v[154:155]  // 0000000079D8: D3B0409A 1E6A71BA
	v_mul_f32_dpp v56, v23, v22 row_newbcast:2 row_mask:0xf bank_mask:0xf// 0000000079E0: 0A702CFA FF015217
	v_mov_b32_e32 v57, v56                                     // 0000000079E8: 7E720338
	v_pk_fma_f32 v[132:133], v[164:165], v[56:57], v[132:133]  // 0000000079EC: D3B04084 1E1271A4
	v_pk_fma_f32 v[134:135], v[166:167], v[56:57], v[134:135]  // 0000000079F4: D3B04086 1E1A71A6
	v_pk_fma_f32 v[140:141], v[172:173], v[56:57], v[140:141]  // 0000000079FC: D3B0408C 1E3271AC
	v_pk_fma_f32 v[142:143], v[174:175], v[56:57], v[142:143]  // 000000007A04: D3B0408E 1E3A71AE
	v_mul_f32_dpp v56, v23, v22 row_newbcast:3 row_mask:0xf bank_mask:0xf// 000000007A0C: 0A702CFA FF015317
	v_mov_b32_e32 v57, v56                                     // 000000007A14: 7E720338
	v_pk_fma_f32 v[148:149], v[180:181], v[56:57], v[148:149]  // 000000007A18: D3B04094 1E5271B4
	v_pk_fma_f32 v[150:151], v[182:183], v[56:57], v[150:151]  // 000000007A20: D3B04096 1E5A71B6
	v_pk_fma_f32 v[156:157], v[188:189], v[56:57], v[156:157]  // 000000007A28: D3B0409C 1E7271BC
	v_pk_fma_f32 v[158:159], v[190:191], v[56:57], v[158:159]  // 000000007A30: D3B0409E 1E7A71BE
	s_add_u32 s60, 0x100, s80                                  // 000000007A38: 803C50FF 00000100
	s_cmp_lt_u32 s60, s81                                      // 000000007A40: BF0A513C
	s_cselect_b32 s4, s4, 0                                    // 000000007A44: 85048004
	s_add_u32 s32, s4, s32                                     // 000000007A48: 80202004
	s_addc_u32 s33, 0, s33                                     // 000000007A4C: 82212180
	s_waitcnt vmcnt(8)                                         // 000000007A50: BF8C0F78
	s_barrier                                                  // 000000007A54: BF8A0000
	v_mfma_f32_16x16x32_fp8_fp8 v[96:99], a[64:65], v[224:225], 0// 000000007A58: D3F30060 0A03C140
	buffer_load_dwordx4 a[0:3], v44, s[24:27], 0 offen         // 000000007A60: E05C1000 8086002C
	v_mfma_f32_16x16x32_fp8_fp8 v[96:99], a[66:67], v[226:227], v[96:99]// 000000007A68: D3F30060 0D83C542
	v_mfma_f32_16x16x32_fp8_fp8 v[96:99], a[68:69], v[228:229], v[96:99]// 000000007A70: D3F30060 0D83C944
	buffer_load_dword v23, v11, s[32:35], 0 offen              // 000000007A78: E0501000 8008170B
	v_mfma_f32_16x16x32_fp8_fp8 v[96:99], a[70:71], v[230:231], v[96:99]// 000000007A80: D3F30060 0D83CD46
	v_mfma_f32_16x16x32_fp8_fp8 v[100:103], a[64:65], v[240:241], 0// 000000007A88: D3F30064 0A03E140
	buffer_load_dwordx4 a[4:7], v44, s[24:27], 0 offen offset:1024// 000000007A90: E05C1400 8086042C
	v_mfma_f32_16x16x32_fp8_fp8 v[100:103], a[66:67], v[242:243], v[100:103]// 000000007A98: D3F30064 0D93E542
	v_mfma_f32_16x16x32_fp8_fp8 v[100:103], a[68:69], v[244:245], v[100:103]// 000000007AA0: D3F30064 0D93E944
	v_mfma_f32_16x16x32_fp8_fp8 v[100:103], a[70:71], v[246:247], v[100:103]// 000000007AA8: D3F30064 0D93ED46
	v_mfma_f32_16x16x32_fp8_fp8 v[104:107], a[80:81], v[224:225], 0// 000000007AB0: D3F30068 0A03C150
	buffer_load_dwordx4 a[16:19], v45, s[24:27], 0 offen       // 000000007AB8: E05C1000 8086102D
	v_mfma_f32_16x16x32_fp8_fp8 v[104:107], a[82:83], v[226:227], v[104:107]// 000000007AC0: D3F30068 0DA3C552
	v_mfma_f32_16x16x32_fp8_fp8 v[104:107], a[84:85], v[228:229], v[104:107]// 000000007AC8: D3F30068 0DA3C954
	v_mfma_f32_16x16x32_fp8_fp8 v[104:107], a[86:87], v[230:231], v[104:107]// 000000007AD0: D3F30068 0DA3CD56
	v_mfma_f32_16x16x32_fp8_fp8 v[108:111], a[80:81], v[240:241], 0// 000000007AD8: D3F3006C 0A03E150
	buffer_load_dwordx4 a[20:23], v45, s[24:27], 0 offen offset:1024// 000000007AE0: E05C1400 8086142D
	v_mfma_f32_16x16x32_fp8_fp8 v[108:111], a[82:83], v[242:243], v[108:111]// 000000007AE8: D3F3006C 0DB3E552
	v_mfma_f32_16x16x32_fp8_fp8 v[108:111], a[84:85], v[244:245], v[108:111]// 000000007AF0: D3F3006C 0DB3E954
	v_mfma_f32_16x16x32_fp8_fp8 v[108:111], a[86:87], v[246:247], v[108:111]// 000000007AF8: D3F3006C 0DB3ED56
	v_mfma_f32_16x16x32_fp8_fp8 v[112:115], a[96:97], v[224:225], 0// 000000007B00: D3F30070 0A03C160
	buffer_load_dwordx4 a[32:35], v46, s[24:27], 0 offen       // 000000007B08: E05C1000 8086202E
	v_mfma_f32_16x16x32_fp8_fp8 v[112:115], a[98:99], v[226:227], v[112:115]// 000000007B10: D3F30070 0DC3C562
	v_mfma_f32_16x16x32_fp8_fp8 v[112:115], a[100:101], v[228:229], v[112:115]// 000000007B18: D3F30070 0DC3C964
	v_mfma_f32_16x16x32_fp8_fp8 v[112:115], a[102:103], v[230:231], v[112:115]// 000000007B20: D3F30070 0DC3CD66
	v_mfma_f32_16x16x32_fp8_fp8 v[116:119], a[96:97], v[240:241], 0// 000000007B28: D3F30074 0A03E160
	buffer_load_dwordx4 a[36:39], v46, s[24:27], 0 offen offset:1024// 000000007B30: E05C1400 8086242E
	v_mfma_f32_16x16x32_fp8_fp8 v[116:119], a[98:99], v[242:243], v[116:119]// 000000007B38: D3F30074 0DD3E562
	v_mfma_f32_16x16x32_fp8_fp8 v[116:119], a[100:101], v[244:245], v[116:119]// 000000007B40: D3F30074 0DD3E964
	v_mfma_f32_16x16x32_fp8_fp8 v[116:119], a[102:103], v[246:247], v[116:119]// 000000007B48: D3F30074 0DD3ED66
	v_mfma_f32_16x16x32_fp8_fp8 v[120:123], a[112:113], v[224:225], 0// 000000007B50: D3F30078 0A03C170
	buffer_load_dwordx4 a[48:51], v47, s[24:27], 0 offen       // 000000007B58: E05C1000 8086302F
	v_mfma_f32_16x16x32_fp8_fp8 v[120:123], a[114:115], v[226:227], v[120:123]// 000000007B60: D3F30078 0DE3C572
	v_mfma_f32_16x16x32_fp8_fp8 v[120:123], a[116:117], v[228:229], v[120:123]// 000000007B68: D3F30078 0DE3C974
	v_mfma_f32_16x16x32_fp8_fp8 v[120:123], a[118:119], v[230:231], v[120:123]// 000000007B70: D3F30078 0DE3CD76
	v_mfma_f32_16x16x32_fp8_fp8 v[124:127], a[112:113], v[240:241], 0// 000000007B78: D3F3007C 0A03E170
	buffer_load_dwordx4 a[52:55], v47, s[24:27], 0 offen offset:1024// 000000007B80: E05C1400 8086342F
	v_mfma_f32_16x16x32_fp8_fp8 v[124:127], a[114:115], v[242:243], v[124:127]// 000000007B88: D3F3007C 0DF3E572
	v_mfma_f32_16x16x32_fp8_fp8 v[124:127], a[116:117], v[244:245], v[124:127]// 000000007B90: D3F3007C 0DF3E974
	v_mfma_f32_16x16x32_fp8_fp8 v[124:127], a[118:119], v[246:247], v[124:127]// 000000007B98: D3F3007C 0DF3ED76
	v_mul_f32_dpp v56, v24, v19 row_newbcast:0 row_mask:0xf bank_mask:0xf// 000000007BA0: 0A7026FA FF015018
	v_mov_b32_e32 v57, v56                                     // 000000007BA8: 7E720338
	v_pk_fma_f32 v[64:65], v[96:97], v[56:57], v[64:65]        // 000000007BAC: D3B04040 1D027160
	v_pk_fma_f32 v[66:67], v[98:99], v[56:57], v[66:67]        // 000000007BB4: D3B04042 1D0A7162
	v_pk_fma_f32 v[72:73], v[104:105], v[56:57], v[72:73]      // 000000007BBC: D3B04048 1D227168
	v_pk_fma_f32 v[74:75], v[106:107], v[56:57], v[74:75]      // 000000007BC4: D3B0404A 1D2A716A
	v_mul_f32_dpp v56, v24, v19 row_newbcast:1 row_mask:0xf bank_mask:0xf// 000000007BCC: 0A7026FA FF015118
	v_mov_b32_e32 v57, v56                                     // 000000007BD4: 7E720338
	v_pk_fma_f32 v[80:81], v[112:113], v[56:57], v[80:81]      // 000000007BD8: D3B04050 1D427170
	v_pk_fma_f32 v[82:83], v[114:115], v[56:57], v[82:83]      // 000000007BE0: D3B04052 1D4A7172
	v_pk_fma_f32 v[88:89], v[120:121], v[56:57], v[88:89]      // 000000007BE8: D3B04058 1D627178
	v_pk_fma_f32 v[90:91], v[122:123], v[56:57], v[90:91]      // 000000007BF0: D3B0405A 1D6A717A
	v_mul_f32_dpp v56, v24, v20 row_newbcast:0 row_mask:0xf bank_mask:0xf// 000000007BF8: 0A7028FA FF015018
	v_mov_b32_e32 v57, v56                                     // 000000007C00: 7E720338
	v_pk_fma_f32 v[68:69], v[100:101], v[56:57], v[68:69]      // 000000007C04: D3B04044 1D127164
	v_pk_fma_f32 v[70:71], v[102:103], v[56:57], v[70:71]      // 000000007C0C: D3B04046 1D1A7166
	v_pk_fma_f32 v[76:77], v[108:109], v[56:57], v[76:77]      // 000000007C14: D3B0404C 1D32716C
	v_pk_fma_f32 v[78:79], v[110:111], v[56:57], v[78:79]      // 000000007C1C: D3B0404E 1D3A716E
	v_mul_f32_dpp v56, v24, v20 row_newbcast:1 row_mask:0xf bank_mask:0xf// 000000007C24: 0A7028FA FF015118
	v_mov_b32_e32 v57, v56                                     // 000000007C2C: 7E720338
	v_pk_fma_f32 v[84:85], v[116:117], v[56:57], v[84:85]      // 000000007C30: D3B04054 1D527174
	v_pk_fma_f32 v[86:87], v[118:119], v[56:57], v[86:87]      // 000000007C38: D3B04056 1D5A7176
	v_pk_fma_f32 v[92:93], v[124:125], v[56:57], v[92:93]      // 000000007C40: D3B0405C 1D72717C
	v_pk_fma_f32 v[94:95], v[126:127], v[56:57], v[94:95]      // 000000007C48: D3B0405E 1D7A717E
	s_waitcnt vmcnt(13)                                        // 000000007C50: BF8C0F7D
	v_mfma_f32_16x16x32_fp8_fp8 v[96:99], a[72:73], v[232:233], 0// 000000007C54: D3F30060 0A03D148
	buffer_load_dwordx4 a[8:11], v44, s[24:27], 0 offen offset:2048// 000000007C5C: E05C1800 8086082C
	v_mfma_f32_16x16x32_fp8_fp8 v[96:99], a[74:75], v[234:235], v[96:99]// 000000007C64: D3F30060 0D83D54A
	v_mfma_f32_16x16x32_fp8_fp8 v[96:99], a[76:77], v[236:237], v[96:99]// 000000007C6C: D3F30060 0D83D94C
	ds_read_b128 v[192:195], v2                                // 000000007C74: D9FE0000 C0000002
	ds_read_b32 v15, v3 offset:8320                            // 000000007C7C: D86C2080 0F000003
	v_mfma_f32_16x16x32_fp8_fp8 v[96:99], a[78:79], v[238:239], v[96:99]// 000000007C84: D3F30060 0D83DD4E
	v_mfma_f32_16x16x32_fp8_fp8 v[100:103], a[72:73], v[248:249], 0// 000000007C8C: D3F30064 0A03F148
	buffer_load_dwordx4 a[12:15], v44, s[24:27], 0 offen offset:3072// 000000007C94: E05C1C00 80860C2C
	v_mfma_f32_16x16x32_fp8_fp8 v[100:103], a[74:75], v[250:251], v[100:103]// 000000007C9C: D3F30064 0D93F54A
	v_mfma_f32_16x16x32_fp8_fp8 v[100:103], a[76:77], v[252:253], v[100:103]// 000000007CA4: D3F30064 0D93F94C
	ds_read_b128 v[196:199], v2 offset:64                      // 000000007CAC: D9FE0040 C4000002
	ds_read_b32 v16, v3 offset:8576                            // 000000007CB4: D86C2180 10000003
	v_mfma_f32_16x16x32_fp8_fp8 v[100:103], a[78:79], v[254:255], v[100:103]// 000000007CBC: D3F30064 0D93FD4E
	v_mfma_f32_16x16x32_fp8_fp8 v[104:107], a[88:89], v[232:233], 0// 000000007CC4: D3F30068 0A03D158
	buffer_load_dwordx4 a[24:27], v45, s[24:27], 0 offen offset:2048// 000000007CCC: E05C1800 8086182D
	v_mfma_f32_16x16x32_fp8_fp8 v[104:107], a[90:91], v[234:235], v[104:107]// 000000007CD4: D3F30068 0DA3D55A
	v_mfma_f32_16x16x32_fp8_fp8 v[104:107], a[92:93], v[236:237], v[104:107]// 000000007CDC: D3F30068 0DA3D95C
	ds_read_b128 v[200:203], v2 offset:128                     // 000000007CE4: D9FE0080 C8000002
	ds_read_b32 v17, v3 offset:8832                            // 000000007CEC: D86C2280 11000003
	v_mfma_f32_16x16x32_fp8_fp8 v[104:107], a[94:95], v[238:239], v[104:107]// 000000007CF4: D3F30068 0DA3DD5E
	v_mfma_f32_16x16x32_fp8_fp8 v[108:111], a[88:89], v[248:249], 0// 000000007CFC: D3F3006C 0A03F158
	buffer_load_dwordx4 a[28:31], v45, s[24:27], 0 offen offset:3072// 000000007D04: E05C1C00 80861C2D
	v_mfma_f32_16x16x32_fp8_fp8 v[108:111], a[90:91], v[250:251], v[108:111]// 000000007D0C: D3F3006C 0DB3F55A
	v_mfma_f32_16x16x32_fp8_fp8 v[108:111], a[92:93], v[252:253], v[108:111]// 000000007D14: D3F3006C 0DB3F95C
	ds_read_b128 v[204:207], v2 offset:192                     // 000000007D1C: D9FE00C0 CC000002
	ds_read_b32 v18, v3 offset:9088                            // 000000007D24: D86C2380 12000003
	v_mfma_f32_16x16x32_fp8_fp8 v[108:111], a[94:95], v[254:255], v[108:111]// 000000007D2C: D3F3006C 0DB3FD5E
	s_waitcnt vmcnt(13)                                        // 000000007D34: BF8C0F7D
	v_mfma_f32_16x16x32_fp8_fp8 v[112:115], a[104:105], v[232:233], 0// 000000007D38: D3F30070 0A03D168
	buffer_load_dwordx4 a[40:43], v46, s[24:27], 0 offen offset:2048// 000000007D40: E05C1800 8086282E
	v_mfma_f32_16x16x32_fp8_fp8 v[112:115], a[106:107], v[234:235], v[112:115]// 000000007D48: D3F30070 0DC3D56A
	v_mfma_f32_16x16x32_fp8_fp8 v[112:115], a[108:109], v[236:237], v[112:115]// 000000007D50: D3F30070 0DC3D96C
	ds_read_b128 v[208:211], v2 offset:1024                    // 000000007D58: D9FE0400 D0000002
	v_mfma_f32_16x16x32_fp8_fp8 v[112:115], a[110:111], v[238:239], v[112:115]// 000000007D60: D3F30070 0DC3DD6E
	v_mfma_f32_16x16x32_fp8_fp8 v[116:119], a[104:105], v[248:249], 0// 000000007D68: D3F30074 0A03F168
	buffer_load_dwordx4 a[44:47], v46, s[24:27], 0 offen offset:3072// 000000007D70: E05C1C00 80862C2E
	v_mfma_f32_16x16x32_fp8_fp8 v[116:119], a[106:107], v[250:251], v[116:119]// 000000007D78: D3F30074 0DD3F56A
	v_mfma_f32_16x16x32_fp8_fp8 v[116:119], a[108:109], v[252:253], v[116:119]// 000000007D80: D3F30074 0DD3F96C
	ds_read_b128 v[212:215], v2 offset:1088                    // 000000007D88: D9FE0440 D4000002
	v_mfma_f32_16x16x32_fp8_fp8 v[116:119], a[110:111], v[254:255], v[116:119]// 000000007D90: D3F30074 0DD3FD6E
	v_mfma_f32_16x16x32_fp8_fp8 v[120:123], a[120:121], v[232:233], 0// 000000007D98: D3F30078 0A03D178
	buffer_load_dwordx4 a[56:59], v47, s[24:27], 0 offen offset:2048// 000000007DA0: E05C1800 8086382F
	v_mfma_f32_16x16x32_fp8_fp8 v[120:123], a[122:123], v[234:235], v[120:123]// 000000007DA8: D3F30078 0DE3D57A
	v_mfma_f32_16x16x32_fp8_fp8 v[120:123], a[124:125], v[236:237], v[120:123]// 000000007DB0: D3F30078 0DE3D97C
	ds_read_b128 v[216:219], v2 offset:1152                    // 000000007DB8: D9FE0480 D8000002
	v_mfma_f32_16x16x32_fp8_fp8 v[120:123], a[126:127], v[238:239], v[120:123]// 000000007DC0: D3F30078 0DE3DD7E
	v_mfma_f32_16x16x32_fp8_fp8 v[124:127], a[120:121], v[248:249], 0// 000000007DC8: D3F3007C 0A03F178
	buffer_load_dwordx4 a[60:63], v47, s[24:27], 0 offen offset:3072// 000000007DD0: E05C1C00 80863C2F
	v_mfma_f32_16x16x32_fp8_fp8 v[124:127], a[122:123], v[250:251], v[124:127]// 000000007DD8: D3F3007C 0DF3F57A
	v_mfma_f32_16x16x32_fp8_fp8 v[124:127], a[124:125], v[252:253], v[124:127]// 000000007DE0: D3F3007C 0DF3F97C
	ds_read_b128 v[220:223], v2 offset:1216                    // 000000007DE8: D9FE04C0 DC000002
	v_mfma_f32_16x16x32_fp8_fp8 v[124:127], a[126:127], v[254:255], v[124:127]// 000000007DF0: D3F3007C 0DF3FD7E
	v_mul_f32_dpp v56, v24, v21 row_newbcast:2 row_mask:0xf bank_mask:0xf// 000000007DF8: 0A702AFA FF015218
	v_mov_b32_e32 v57, v56                                     // 000000007E00: 7E720338
	v_pk_fma_f32 v[64:65], v[96:97], v[56:57], v[64:65]        // 000000007E04: D3B04040 1D027160
	v_pk_fma_f32 v[66:67], v[98:99], v[56:57], v[66:67]        // 000000007E0C: D3B04042 1D0A7162
	v_pk_fma_f32 v[72:73], v[104:105], v[56:57], v[72:73]      // 000000007E14: D3B04048 1D227168
	v_pk_fma_f32 v[74:75], v[106:107], v[56:57], v[74:75]      // 000000007E1C: D3B0404A 1D2A716A
	v_mul_f32_dpp v56, v24, v21 row_newbcast:3 row_mask:0xf bank_mask:0xf// 000000007E24: 0A702AFA FF015318
	v_mov_b32_e32 v57, v56                                     // 000000007E2C: 7E720338
	v_pk_fma_f32 v[80:81], v[112:113], v[56:57], v[80:81]      // 000000007E30: D3B04050 1D427170
	v_pk_fma_f32 v[82:83], v[114:115], v[56:57], v[82:83]      // 000000007E38: D3B04052 1D4A7172
	v_pk_fma_f32 v[88:89], v[120:121], v[56:57], v[88:89]      // 000000007E40: D3B04058 1D627178
	v_pk_fma_f32 v[90:91], v[122:123], v[56:57], v[90:91]      // 000000007E48: D3B0405A 1D6A717A
	v_mul_f32_dpp v56, v24, v22 row_newbcast:2 row_mask:0xf bank_mask:0xf// 000000007E50: 0A702CFA FF015218
	v_mov_b32_e32 v57, v56                                     // 000000007E58: 7E720338
	v_pk_fma_f32 v[68:69], v[100:101], v[56:57], v[68:69]      // 000000007E5C: D3B04044 1D127164
	v_pk_fma_f32 v[70:71], v[102:103], v[56:57], v[70:71]      // 000000007E64: D3B04046 1D1A7166
	v_pk_fma_f32 v[76:77], v[108:109], v[56:57], v[76:77]      // 000000007E6C: D3B0404C 1D32716C
	v_pk_fma_f32 v[78:79], v[110:111], v[56:57], v[78:79]      // 000000007E74: D3B0404E 1D3A716E
	v_mul_f32_dpp v56, v24, v22 row_newbcast:3 row_mask:0xf bank_mask:0xf// 000000007E7C: 0A702CFA FF015318
	v_mov_b32_e32 v57, v56                                     // 000000007E84: 7E720338
	v_pk_fma_f32 v[84:85], v[116:117], v[56:57], v[84:85]      // 000000007E88: D3B04054 1D527174
	v_pk_fma_f32 v[86:87], v[118:119], v[56:57], v[86:87]      // 000000007E90: D3B04056 1D5A7176
	v_pk_fma_f32 v[92:93], v[124:125], v[56:57], v[92:93]      // 000000007E98: D3B0405C 1D72717C
	v_pk_fma_f32 v[94:95], v[126:127], v[56:57], v[94:95]      // 000000007EA0: D3B0405E 1D7A717E
	s_add_u32 s60, 0x200, s80                                  // 000000007EA8: 803C50FF 00000200
	s_cmp_lt_u32 s60, s81                                      // 000000007EB0: BF0A513C
	s_cselect_b32 s57, s57, 0                                  // 000000007EB4: 85398039
	s_cselect_b32 s3, s3, 0                                    // 000000007EB8: 85038003
	s_add_u32 s60, 0x200, s80                                  // 000000007EBC: 803C50FF 00000200
	s_cmp_lt_u32 s60, s81                                      // 000000007EC4: BF0A513C
	s_cselect_b32 s58, s58, 0                                  // 000000007EC8: 853A803A
	s_add_u32 s20, s57, s20                                    // 000000007ECC: 80141439
	s_addc_u32 s21, 0, s21                                     // 000000007ED0: 82151580
	s_add_u32 s28, s3, s28                                     // 000000007ED4: 801C1C03
	s_addc_u32 s29, 0, s29                                     // 000000007ED8: 821D1D80
	s_add_u32 s24, s58, s24                                    // 000000007EDC: 8018183A
	s_addc_u32 s25, 0, s25                                     // 000000007EE0: 82191980
	s_add_u32 s92, s90, s92                                    // 000000007EE4: 805C5C5A
	s_addc_u32 s93, 0, s93                                     // 000000007EE8: 825D5D80
	s_addk_i32 s80, 0x100                                      // 000000007EEC: B7500100
	s_cmp_lt_i32 s80, s81                                      // 000000007EF0: BF045150
	s_cbranch_scc0 label_143F                                  // 000000007EF4: BF840001
	s_branch label_0F9E                                        // 000000007EF8: BF82FB5F

0000000000007efc <label_143F>:
	s_mov_b32 s20, 0                                           // 000000007EFC: BE940080
	s_cmp_lt_u32 s89, s66                                      // 000000007F00: BF0A4259
	s_cselect_b32 s60, 0, 1                                    // 000000007F04: 853C8180
	s_lshl1_add_u32 s20, s20, s60                              // 000000007F08: 97143C14
	s_cmp_lt_u32 s88, s66                                      // 000000007F0C: BF0A4258
	s_cselect_b32 s60, 0, 1                                    // 000000007F10: 853C8180
	s_lshl1_add_u32 s20, s20, s60                              // 000000007F14: 97143C14
	s_cmp_lt_u32 s87, s66                                      // 000000007F18: BF0A4257
	s_cselect_b32 s60, 0, 1                                    // 000000007F1C: 853C8180
	s_lshl1_add_u32 s20, s20, s60                              // 000000007F20: 97143C14
	s_cmp_lt_u32 s86, s66                                      // 000000007F24: BF0A4256
	s_cselect_b32 s60, 0, 1                                    // 000000007F28: 853C8180
	s_lshl1_add_u32 s20, s20, s60                              // 000000007F2C: 97143C14
	s_cmp_lt_u32 s85, s66                                      // 000000007F30: BF0A4255
	s_cselect_b32 s60, 0, 1                                    // 000000007F34: 853C8180
	s_lshl1_add_u32 s20, s20, s60                              // 000000007F38: 97143C14
	s_cmp_lt_u32 s84, s66                                      // 000000007F3C: BF0A4254
	s_cselect_b32 s60, 0, 1                                    // 000000007F40: 853C8180
	s_lshl1_add_u32 s20, s20, s60                              // 000000007F44: 97143C14
	s_cmp_lt_u32 s83, s66                                      // 000000007F48: BF0A4253
	s_cselect_b32 s60, 0, 1                                    // 000000007F4C: 853C8180
	s_lshl1_add_u32 s20, s20, s60                              // 000000007F50: 97143C14
	s_cmp_lt_u32 s82, s66                                      // 000000007F54: BF0A4252
	s_cselect_b32 s60, 0, 1                                    // 000000007F58: 853C8180
	s_lshl1_add_u32 s20, s20, s60                              // 000000007F5C: 97143C14
	s_waitcnt vmcnt(12)                                        // 000000007F60: BF8C0F7C
	buffer_load_dwordx4 a[0:3], v48, s[12:15], 0 offen         // 000000007F64: E05C1000 80830030
	v_mul_f32_e64 v56, -v128, s6                               // 000000007F6C: D1050038 20000D80
	v_mul_f32_e64 v57, -v129, s6                               // 000000007F74: D1050039 20000D81
	v_mul_f32_e64 v58, -v130, s6                               // 000000007F7C: D105003A 20000D82
	v_mul_f32_e64 v59, -v131, s6                               // 000000007F84: D105003B 20000D83
	v_exp_f32_e32 v56, v56                                     // 000000007F8C: 7E704138
	v_exp_f32_e32 v57, v57                                     // 000000007F90: 7E724139
	v_exp_f32_e32 v58, v58                                     // 000000007F94: 7E74413A
	v_exp_f32_e32 v59, v59                                     // 000000007F98: 7E76413B
	buffer_load_dwordx4 a[4:7], v49, s[12:15], 0 offen         // 000000007F9C: E05C1000 80830431
	v_add_f32_e64 v56, v56, 1.0                                // 000000007FA4: D1010038 0001E538
	v_add_f32_e64 v57, v57, 1.0                                // 000000007FAC: D1010039 0001E539
	v_add_f32_e64 v58, v58, 1.0                                // 000000007FB4: D101003A 0001E53A
	v_add_f32_e64 v59, v59, 1.0                                // 000000007FBC: D101003B 0001E53B
	v_rcp_f32_e32 v56, v56                                     // 000000007FC4: 7E704538
	v_rcp_f32_e32 v57, v57                                     // 000000007FC8: 7E724539
	v_rcp_f32_e32 v58, v58                                     // 000000007FCC: 7E74453A
	v_rcp_f32_e32 v59, v59                                     // 000000007FD0: 7E76453B
	v_mul_f32_e32 v128, v128, v56                              // 000000007FD4: 0B007180
	v_mul_f32_e32 v129, v129, v57                              // 000000007FD8: 0B027381
	v_mul_f32_e32 v130, v130, v58                              // 000000007FDC: 0B047582
	v_mul_f32_e32 v131, v131, v59                              // 000000007FE0: 0B067783
	v_mul_f32_e32 v128, v128, v64                              // 000000007FE4: 0B008180
	v_mul_f32_e32 v129, v129, v65                              // 000000007FE8: 0B028381
	v_mul_f32_e32 v130, v130, v66                              // 000000007FEC: 0B048582
	v_mul_f32_e32 v131, v131, v67                              // 000000007FF0: 0B068783
	buffer_load_dwordx4 a[8:11], v50, s[12:15], 0 offen        // 000000007FF4: E05C1000 80830832
	v_mul_f32_e64 v56, -v132, s6                               // 000000007FFC: D1050038 20000D84
	v_mul_f32_e64 v57, -v133, s6                               // 000000008004: D1050039 20000D85
	v_mul_f32_e64 v58, -v134, s6                               // 00000000800C: D105003A 20000D86
	v_mul_f32_e64 v59, -v135, s6                               // 000000008014: D105003B 20000D87
	v_exp_f32_e32 v56, v56                                     // 00000000801C: 7E704138
	v_exp_f32_e32 v57, v57                                     // 000000008020: 7E724139
	v_exp_f32_e32 v58, v58                                     // 000000008024: 7E74413A
	v_exp_f32_e32 v59, v59                                     // 000000008028: 7E76413B
	buffer_load_dwordx4 a[12:15], v51, s[12:15], 0 offen       // 00000000802C: E05C1000 80830C33
	s_add_u32 s12, s78, s12                                    // 000000008034: 800C0C4E
	s_addc_u32 s13, 0, s13                                     // 000000008038: 820D0D80
	v_add_f32_e64 v56, v56, 1.0                                // 00000000803C: D1010038 0001E538
	v_add_f32_e64 v57, v57, 1.0                                // 000000008044: D1010039 0001E539
	v_add_f32_e64 v58, v58, 1.0                                // 00000000804C: D101003A 0001E53A
	v_add_f32_e64 v59, v59, 1.0                                // 000000008054: D101003B 0001E53B
	v_rcp_f32_e32 v56, v56                                     // 00000000805C: 7E704538
	v_rcp_f32_e32 v57, v57                                     // 000000008060: 7E724539
	v_rcp_f32_e32 v58, v58                                     // 000000008064: 7E74453A
	v_rcp_f32_e32 v59, v59                                     // 000000008068: 7E76453B
	v_mul_f32_e32 v132, v132, v56                              // 00000000806C: 0B087184
	v_mul_f32_e32 v133, v133, v57                              // 000000008070: 0B0A7385
	v_mul_f32_e32 v134, v134, v58                              // 000000008074: 0B0C7586
	v_mul_f32_e32 v135, v135, v59                              // 000000008078: 0B0E7787
	v_mul_f32_e32 v132, v132, v68                              // 00000000807C: 0B088984
	v_mul_f32_e32 v133, v133, v69                              // 000000008080: 0B0A8B85
	v_mul_f32_e32 v134, v134, v70                              // 000000008084: 0B0C8D86
	v_mul_f32_e32 v135, v135, v71                              // 000000008088: 0B0E8F87
	s_waitcnt vmcnt(12)                                        // 00000000808C: BF8C0F7C
	buffer_load_dwordx4 a[16:19], v48, s[12:15], 0 offen       // 000000008090: E05C1000 80831030
	v_mul_f32_e64 v56, -v136, s6                               // 000000008098: D1050038 20000D88
	v_mul_f32_e64 v57, -v137, s6                               // 0000000080A0: D1050039 20000D89
	v_mul_f32_e64 v58, -v138, s6                               // 0000000080A8: D105003A 20000D8A
	v_mul_f32_e64 v59, -v139, s6                               // 0000000080B0: D105003B 20000D8B
	v_exp_f32_e32 v56, v56                                     // 0000000080B8: 7E704138
	v_exp_f32_e32 v57, v57                                     // 0000000080BC: 7E724139
	v_exp_f32_e32 v58, v58                                     // 0000000080C0: 7E74413A
	v_exp_f32_e32 v59, v59                                     // 0000000080C4: 7E76413B
	buffer_load_dwordx4 a[20:23], v49, s[12:15], 0 offen       // 0000000080C8: E05C1000 80831431
	v_add_f32_e64 v56, v56, 1.0                                // 0000000080D0: D1010038 0001E538
	v_add_f32_e64 v57, v57, 1.0                                // 0000000080D8: D1010039 0001E539
	v_add_f32_e64 v58, v58, 1.0                                // 0000000080E0: D101003A 0001E53A
	v_add_f32_e64 v59, v59, 1.0                                // 0000000080E8: D101003B 0001E53B
	v_rcp_f32_e32 v56, v56                                     // 0000000080F0: 7E704538
	v_rcp_f32_e32 v57, v57                                     // 0000000080F4: 7E724539
	v_rcp_f32_e32 v58, v58                                     // 0000000080F8: 7E74453A
	v_rcp_f32_e32 v59, v59                                     // 0000000080FC: 7E76453B
	v_mul_f32_e32 v136, v136, v56                              // 000000008100: 0B107188
	v_mul_f32_e32 v137, v137, v57                              // 000000008104: 0B127389
	v_mul_f32_e32 v138, v138, v58                              // 000000008108: 0B14758A
	v_mul_f32_e32 v139, v139, v59                              // 00000000810C: 0B16778B
	v_mul_f32_e32 v136, v136, v72                              // 000000008110: 0B109188
	v_mul_f32_e32 v137, v137, v73                              // 000000008114: 0B129389
	v_mul_f32_e32 v138, v138, v74                              // 000000008118: 0B14958A
	v_mul_f32_e32 v139, v139, v75                              // 00000000811C: 0B16978B
	buffer_load_dwordx4 a[24:27], v50, s[12:15], 0 offen       // 000000008120: E05C1000 80831832
	v_mul_f32_e64 v56, -v140, s6                               // 000000008128: D1050038 20000D8C
	v_mul_f32_e64 v57, -v141, s6                               // 000000008130: D1050039 20000D8D
	v_mul_f32_e64 v58, -v142, s6                               // 000000008138: D105003A 20000D8E
	v_mul_f32_e64 v59, -v143, s6                               // 000000008140: D105003B 20000D8F
	v_exp_f32_e32 v56, v56                                     // 000000008148: 7E704138
	v_exp_f32_e32 v57, v57                                     // 00000000814C: 7E724139
	v_exp_f32_e32 v58, v58                                     // 000000008150: 7E74413A
	v_exp_f32_e32 v59, v59                                     // 000000008154: 7E76413B
	buffer_load_dwordx4 a[28:31], v51, s[12:15], 0 offen       // 000000008158: E05C1000 80831C33
	s_add_u32 s12, s78, s12                                    // 000000008160: 800C0C4E
	s_addc_u32 s13, 0, s13                                     // 000000008164: 820D0D80
	v_add_f32_e64 v56, v56, 1.0                                // 000000008168: D1010038 0001E538
	v_add_f32_e64 v57, v57, 1.0                                // 000000008170: D1010039 0001E539
	v_add_f32_e64 v58, v58, 1.0                                // 000000008178: D101003A 0001E53A
	v_add_f32_e64 v59, v59, 1.0                                // 000000008180: D101003B 0001E53B
	v_rcp_f32_e32 v56, v56                                     // 000000008188: 7E704538
	v_rcp_f32_e32 v57, v57                                     // 00000000818C: 7E724539
	v_rcp_f32_e32 v58, v58                                     // 000000008190: 7E74453A
	v_rcp_f32_e32 v59, v59                                     // 000000008194: 7E76453B
	v_mul_f32_e32 v140, v140, v56                              // 000000008198: 0B18718C
	v_mul_f32_e32 v141, v141, v57                              // 00000000819C: 0B1A738D
	v_mul_f32_e32 v142, v142, v58                              // 0000000081A0: 0B1C758E
	v_mul_f32_e32 v143, v143, v59                              // 0000000081A4: 0B1E778F
	v_mul_f32_e32 v140, v140, v76                              // 0000000081A8: 0B18998C
	v_mul_f32_e32 v141, v141, v77                              // 0000000081AC: 0B1A9B8D
	v_mul_f32_e32 v142, v142, v78                              // 0000000081B0: 0B1C9D8E
	v_mul_f32_e32 v143, v143, v79                              // 0000000081B4: 0B1E9F8F
	s_waitcnt vmcnt(12)                                        // 0000000081B8: BF8C0F7C
	buffer_load_dwordx4 a[32:35], v48, s[12:15], 0 offen       // 0000000081BC: E05C1000 80832030
	v_mul_f32_e64 v56, -v144, s6                               // 0000000081C4: D1050038 20000D90
	v_mul_f32_e64 v57, -v145, s6                               // 0000000081CC: D1050039 20000D91
	v_mul_f32_e64 v58, -v146, s6                               // 0000000081D4: D105003A 20000D92
	v_mul_f32_e64 v59, -v147, s6                               // 0000000081DC: D105003B 20000D93
	v_exp_f32_e32 v56, v56                                     // 0000000081E4: 7E704138
	v_exp_f32_e32 v57, v57                                     // 0000000081E8: 7E724139
	v_exp_f32_e32 v58, v58                                     // 0000000081EC: 7E74413A
	v_exp_f32_e32 v59, v59                                     // 0000000081F0: 7E76413B
	buffer_load_dwordx4 a[36:39], v49, s[12:15], 0 offen       // 0000000081F4: E05C1000 80832431
	v_add_f32_e64 v56, v56, 1.0                                // 0000000081FC: D1010038 0001E538
	v_add_f32_e64 v57, v57, 1.0                                // 000000008204: D1010039 0001E539
	v_add_f32_e64 v58, v58, 1.0                                // 00000000820C: D101003A 0001E53A
	v_add_f32_e64 v59, v59, 1.0                                // 000000008214: D101003B 0001E53B
	v_rcp_f32_e32 v56, v56                                     // 00000000821C: 7E704538
	v_rcp_f32_e32 v57, v57                                     // 000000008220: 7E724539
	v_rcp_f32_e32 v58, v58                                     // 000000008224: 7E74453A
	v_rcp_f32_e32 v59, v59                                     // 000000008228: 7E76453B
	v_mul_f32_e32 v144, v144, v56                              // 00000000822C: 0B207190
	v_mul_f32_e32 v145, v145, v57                              // 000000008230: 0B227391
	v_mul_f32_e32 v146, v146, v58                              // 000000008234: 0B247592
	v_mul_f32_e32 v147, v147, v59                              // 000000008238: 0B267793
	v_mul_f32_e32 v144, v144, v80                              // 00000000823C: 0B20A190
	v_mul_f32_e32 v145, v145, v81                              // 000000008240: 0B22A391
	v_mul_f32_e32 v146, v146, v82                              // 000000008244: 0B24A592
	v_mul_f32_e32 v147, v147, v83                              // 000000008248: 0B26A793
	buffer_load_dwordx4 a[40:43], v50, s[12:15], 0 offen       // 00000000824C: E05C1000 80832832
	v_mul_f32_e64 v56, -v148, s6                               // 000000008254: D1050038 20000D94
	v_mul_f32_e64 v57, -v149, s6                               // 00000000825C: D1050039 20000D95
	v_mul_f32_e64 v58, -v150, s6                               // 000000008264: D105003A 20000D96
	v_mul_f32_e64 v59, -v151, s6                               // 00000000826C: D105003B 20000D97
	v_exp_f32_e32 v56, v56                                     // 000000008274: 7E704138
	v_exp_f32_e32 v57, v57                                     // 000000008278: 7E724139
	v_exp_f32_e32 v58, v58                                     // 00000000827C: 7E74413A
	v_exp_f32_e32 v59, v59                                     // 000000008280: 7E76413B
	buffer_load_dwordx4 a[44:47], v51, s[12:15], 0 offen       // 000000008284: E05C1000 80832C33
	s_add_u32 s12, s78, s12                                    // 00000000828C: 800C0C4E
	s_addc_u32 s13, 0, s13                                     // 000000008290: 820D0D80
	v_add_f32_e64 v56, v56, 1.0                                // 000000008294: D1010038 0001E538
	v_add_f32_e64 v57, v57, 1.0                                // 00000000829C: D1010039 0001E539
	v_add_f32_e64 v58, v58, 1.0                                // 0000000082A4: D101003A 0001E53A
	v_add_f32_e64 v59, v59, 1.0                                // 0000000082AC: D101003B 0001E53B
	v_rcp_f32_e32 v56, v56                                     // 0000000082B4: 7E704538
	v_rcp_f32_e32 v57, v57                                     // 0000000082B8: 7E724539
	v_rcp_f32_e32 v58, v58                                     // 0000000082BC: 7E74453A
	v_rcp_f32_e32 v59, v59                                     // 0000000082C0: 7E76453B
	v_mul_f32_e32 v148, v148, v56                              // 0000000082C4: 0B287194
	v_mul_f32_e32 v149, v149, v57                              // 0000000082C8: 0B2A7395
	v_mul_f32_e32 v150, v150, v58                              // 0000000082CC: 0B2C7596
	v_mul_f32_e32 v151, v151, v59                              // 0000000082D0: 0B2E7797
	v_mul_f32_e32 v148, v148, v84                              // 0000000082D4: 0B28A994
	v_mul_f32_e32 v149, v149, v85                              // 0000000082D8: 0B2AAB95
	v_mul_f32_e32 v150, v150, v86                              // 0000000082DC: 0B2CAD96
	v_mul_f32_e32 v151, v151, v87                              // 0000000082E0: 0B2EAF97
	s_waitcnt vmcnt(12)                                        // 0000000082E4: BF8C0F7C
	buffer_load_dwordx4 a[48:51], v48, s[12:15], 0 offen       // 0000000082E8: E05C1000 80833030
	v_mul_f32_e64 v56, -v152, s6                               // 0000000082F0: D1050038 20000D98
	v_mul_f32_e64 v57, -v153, s6                               // 0000000082F8: D1050039 20000D99
	v_mul_f32_e64 v58, -v154, s6                               // 000000008300: D105003A 20000D9A
	v_mul_f32_e64 v59, -v155, s6                               // 000000008308: D105003B 20000D9B
	v_exp_f32_e32 v56, v56                                     // 000000008310: 7E704138
	v_exp_f32_e32 v57, v57                                     // 000000008314: 7E724139
	v_exp_f32_e32 v58, v58                                     // 000000008318: 7E74413A
	v_exp_f32_e32 v59, v59                                     // 00000000831C: 7E76413B
	buffer_load_dwordx4 a[52:55], v49, s[12:15], 0 offen       // 000000008320: E05C1000 80833431
	v_add_f32_e64 v56, v56, 1.0                                // 000000008328: D1010038 0001E538
	v_add_f32_e64 v57, v57, 1.0                                // 000000008330: D1010039 0001E539
	v_add_f32_e64 v58, v58, 1.0                                // 000000008338: D101003A 0001E53A
	v_add_f32_e64 v59, v59, 1.0                                // 000000008340: D101003B 0001E53B
	v_rcp_f32_e32 v56, v56                                     // 000000008348: 7E704538
	v_rcp_f32_e32 v57, v57                                     // 00000000834C: 7E724539
	v_rcp_f32_e32 v58, v58                                     // 000000008350: 7E74453A
	v_rcp_f32_e32 v59, v59                                     // 000000008354: 7E76453B
	v_mul_f32_e32 v152, v152, v56                              // 000000008358: 0B307198
	v_mul_f32_e32 v153, v153, v57                              // 00000000835C: 0B327399
	v_mul_f32_e32 v154, v154, v58                              // 000000008360: 0B34759A
	v_mul_f32_e32 v155, v155, v59                              // 000000008364: 0B36779B
	v_mul_f32_e32 v152, v152, v88                              // 000000008368: 0B30B198
	v_mul_f32_e32 v153, v153, v89                              // 00000000836C: 0B32B399
	v_mul_f32_e32 v154, v154, v90                              // 000000008370: 0B34B59A
	v_mul_f32_e32 v155, v155, v91                              // 000000008374: 0B36B79B
	buffer_load_dwordx4 a[56:59], v50, s[12:15], 0 offen       // 000000008378: E05C1000 80833832
	v_mul_f32_e64 v56, -v156, s6                               // 000000008380: D1050038 20000D9C
	v_mul_f32_e64 v57, -v157, s6                               // 000000008388: D1050039 20000D9D
	v_mul_f32_e64 v58, -v158, s6                               // 000000008390: D105003A 20000D9E
	v_mul_f32_e64 v59, -v159, s6                               // 000000008398: D105003B 20000D9F
	v_exp_f32_e32 v56, v56                                     // 0000000083A0: 7E704138
	v_exp_f32_e32 v57, v57                                     // 0000000083A4: 7E724139
	v_exp_f32_e32 v58, v58                                     // 0000000083A8: 7E74413A
	v_exp_f32_e32 v59, v59                                     // 0000000083AC: 7E76413B
	buffer_load_dwordx4 a[60:63], v51, s[12:15], 0 offen       // 0000000083B0: E05C1000 80833C33
	v_add_f32_e64 v56, v56, 1.0                                // 0000000083B8: D1010038 0001E538
	v_add_f32_e64 v57, v57, 1.0                                // 0000000083C0: D1010039 0001E539
	v_add_f32_e64 v58, v58, 1.0                                // 0000000083C8: D101003A 0001E53A
	v_add_f32_e64 v59, v59, 1.0                                // 0000000083D0: D101003B 0001E53B
	v_rcp_f32_e32 v56, v56                                     // 0000000083D8: 7E704538
	v_rcp_f32_e32 v57, v57                                     // 0000000083DC: 7E724539
	v_rcp_f32_e32 v58, v58                                     // 0000000083E0: 7E74453A
	v_rcp_f32_e32 v59, v59                                     // 0000000083E4: 7E76453B
	v_mul_f32_e32 v156, v156, v56                              // 0000000083E8: 0B38719C
	v_mul_f32_e32 v157, v157, v57                              // 0000000083EC: 0B3A739D
	v_mul_f32_e32 v158, v158, v58                              // 0000000083F0: 0B3C759E
	v_mul_f32_e32 v159, v159, v59                              // 0000000083F4: 0B3E779F
	v_mul_f32_e32 v156, v156, v92                              // 0000000083F8: 0B38B99C
	v_mul_f32_e32 v157, v157, v93                              // 0000000083FC: 0B3ABB9D
	v_mul_f32_e32 v158, v158, v94                              // 000000008400: 0B3CBD9E
	v_mul_f32_e32 v159, v159, v95                              // 000000008404: 0B3EBF9F
	v_lshlrev_b32_e32 v56, 2, v0                               // 000000008408: 24700082
	s_mul_i32 s60, s82, s71                                    // 00000000840C: 923C4752
	v_add_u32_e64 v80, v56, s60                                // 000000008410: D1340050 00007938
	v_mov_b32_e32 v81, 0                                       // 000000008418: 7EA20280
	s_mul_i32 s60, s83, s71                                    // 00000000841C: 923C4753
	v_add_u32_e64 v82, v56, s60                                // 000000008420: D1340052 00007938
	v_mov_b32_e32 v83, 0                                       // 000000008428: 7EA60280
	s_mul_i32 s60, s84, s71                                    // 00000000842C: 923C4754
	v_add_u32_e64 v84, v56, s60                                // 000000008430: D1340054 00007938
	v_mov_b32_e32 v85, 0                                       // 000000008438: 7EAA0280
	s_mul_i32 s60, s85, s71                                    // 00000000843C: 923C4755
	v_add_u32_e64 v86, v56, s60                                // 000000008440: D1340056 00007938
	v_mov_b32_e32 v87, 0                                       // 000000008448: 7EAE0280
	s_mul_i32 s60, s86, s71                                    // 00000000844C: 923C4756
	v_add_u32_e64 v88, v56, s60                                // 000000008450: D1340058 00007938
	v_mov_b32_e32 v89, 0                                       // 000000008458: 7EB20280
	s_mul_i32 s60, s87, s71                                    // 00000000845C: 923C4757
	v_add_u32_e64 v90, v56, s60                                // 000000008460: D134005A 00007938
	v_mov_b32_e32 v91, 0                                       // 000000008468: 7EB60280
	s_mul_i32 s60, s88, s71                                    // 00000000846C: 923C4758
	v_add_u32_e64 v92, v56, s60                                // 000000008470: D134005C 00007938
	v_mov_b32_e32 v93, 0                                       // 000000008478: 7EBA0280
	s_mul_i32 s60, s89, s71                                    // 00000000847C: 923C4759
	v_add_u32_e64 v94, v56, s60                                // 000000008480: D134005E 00007938
	v_mov_b32_e32 v95, 0                                       // 000000008488: 7EBE0280
	buffer_load_dword v23, v6, s[16:19], 0 offen               // 00000000848C: E0501000 80041706
	v_mov_b32_e32 v28, 0x358637bd                              // 000000008494: 7E3802FF 358637BD
	v_mov_b32_e32 v29, 0x358637bd                              // 00000000849C: 7E3A02FF 358637BD
	v_max3_f32 v28, |v128|, |v129|, v28                        // 0000000084A4: D1D3031C 04730380
	v_max3_f32 v28, |v130|, |v131|, v28                        // 0000000084AC: D1D3031C 04730782
	v_max3_f32 v29, |v132|, |v133|, v29                        // 0000000084B4: D1D3031D 04770B84
	v_max3_f32 v29, |v134|, |v135|, v29                        // 0000000084BC: D1D3031D 04770F86
	v_max3_f32 v28, |v136|, |v137|, v28                        // 0000000084C4: D1D3031C 04731388
	v_max3_f32 v28, |v138|, |v139|, v28                        // 0000000084CC: D1D3031C 0473178A
	v_max3_f32 v29, |v140|, |v141|, v29                        // 0000000084D4: D1D3031D 04771B8C
	v_max3_f32 v29, |v142|, |v143|, v29                        // 0000000084DC: D1D3031D 04771F8E
	v_lshlrev_b32_e32 v56, 3, v0                               // 0000000084E4: 24700083
	s_mul_i32 s60, 0x200, s7                                   // 0000000084E8: 923C07FF 00000200
	v_add_u32_e32 v56, s60, v56                                // 0000000084F0: 6870703C
	ds_write_b64 v56, v[28:29] offset:18688                    // 0000000084F4: D89A4900 00001C38
	s_waitcnt lgkmcnt(0)                                       // 0000000084FC: BF8CC07F
	s_barrier                                                  // 000000008500: BF8A0000
	v_and_b32_e32 v56, 15, v0                                  // 000000008504: 2670008F
	v_lshlrev_b32_e32 v56, 3, v56                              // 000000008508: 24707083
	ds_read_b64 v[96:97], v56 offset:18688                     // 00000000850C: D8EC4900 60000038
	ds_read_b64 v[98:99], v56 offset:18816                     // 000000008514: D8EC4980 62000038
	ds_read_b64 v[100:101], v56 offset:18944                   // 00000000851C: D8EC4A00 64000038
	ds_read_b64 v[102:103], v56 offset:19072                   // 000000008524: D8EC4A80 66000038
	ds_read_b64 v[104:105], v56 offset:19200                   // 00000000852C: D8EC4B00 68000038
	ds_read_b64 v[106:107], v56 offset:19328                   // 000000008534: D8EC4B80 6A000038
	ds_read_b64 v[108:109], v56 offset:19456                   // 00000000853C: D8EC4C00 6C000038
	ds_read_b64 v[110:111], v56 offset:19584                   // 000000008544: D8EC4C80 6E000038
	ds_read_b64 v[112:113], v56 offset:19712                   // 00000000854C: D8EC4D00 70000038
	ds_read_b64 v[114:115], v56 offset:19840                   // 000000008554: D8EC4D80 72000038
	ds_read_b64 v[116:117], v56 offset:19968                   // 00000000855C: D8EC4E00 74000038
	ds_read_b64 v[118:119], v56 offset:20096                   // 000000008564: D8EC4E80 76000038
	ds_read_b64 v[120:121], v56 offset:20224                   // 00000000856C: D8EC4F00 78000038
	ds_read_b64 v[122:123], v56 offset:20352                   // 000000008574: D8EC4F80 7A000038
	ds_read_b64 v[124:125], v56 offset:20480                   // 00000000857C: D8EC5000 7C000038
	ds_read_b64 v[126:127], v56 offset:20608                   // 000000008584: D8EC5080 7E000038
	s_waitcnt lgkmcnt(0)                                       // 00000000858C: BF8CC07F
	v_max3_f32 v28, |v96|, |v98|, v28                          // 000000008590: D1D3031C 0472C560
	v_max3_f32 v29, |v97|, |v99|, v29                          // 000000008598: D1D3031D 0476C761
	v_max3_f32 v28, |v100|, |v102|, v28                        // 0000000085A0: D1D3031C 0472CD64
	v_max3_f32 v29, |v101|, |v103|, v29                        // 0000000085A8: D1D3031D 0476CF65
	v_max3_f32 v28, |v104|, |v106|, v28                        // 0000000085B0: D1D3031C 0472D568
	v_max3_f32 v29, |v105|, |v107|, v29                        // 0000000085B8: D1D3031D 0476D769
	v_max3_f32 v28, |v108|, |v110|, v28                        // 0000000085C0: D1D3031C 0472DD6C
	v_max3_f32 v29, |v109|, |v111|, v29                        // 0000000085C8: D1D3031D 0476DF6D
	v_max3_f32 v28, |v112|, |v114|, v28                        // 0000000085D0: D1D3031C 0472E570
	v_max3_f32 v29, |v113|, |v115|, v29                        // 0000000085D8: D1D3031D 0476E771
	v_max3_f32 v28, |v116|, |v118|, v28                        // 0000000085E0: D1D3031C 0472ED74
	v_max3_f32 v29, |v117|, |v119|, v29                        // 0000000085E8: D1D3031D 0476EF75
	v_max3_f32 v28, |v120|, |v122|, v28                        // 0000000085F0: D1D3031C 0472F578
	v_max3_f32 v29, |v121|, |v123|, v29                        // 0000000085F8: D1D3031D 0476F779
	v_max3_f32 v28, |v124|, |v126|, v28                        // 000000008600: D1D3031C 0472FD7C
	v_max3_f32 v29, |v125|, |v127|, v29                        // 000000008608: D1D3031D 0476FF7D
	v_rcp_f32_e32 v28, v28                                     // 000000008610: 7E38451C
	v_rcp_f32_e32 v29, v29                                     // 000000008614: 7E3A451D
	v_mov_b32_e32 v56, 0x43700000                              // 000000008618: 7E7002FF 43700000
	v_mul_f32_e32 v28, v56, v28                                // 000000008620: 0A383938
	v_mul_f32_e32 v29, v56, v29                                // 000000008624: 0A3A3B38
	v_mul_f32_e32 v128, v28, v128                              // 000000008628: 0B01011C
	v_mul_f32_e32 v129, v28, v129                              // 00000000862C: 0B03031C
	v_mul_f32_e32 v130, v28, v130                              // 000000008630: 0B05051C
	v_mul_f32_e32 v131, v28, v131                              // 000000008634: 0B07071C
	v_cvt_pk_fp8_f32 v128, v128, v129                          // 000000008638: D2A20080 00030380
	v_cvt_pk_fp8_f32 v128, v130, v131 op_sel:[0,0,1]           // 000000008640: D2A24080 00030782
	v_mul_f32_e32 v132, v29, v132                              // 000000008648: 0B09091D
	v_mul_f32_e32 v133, v29, v133                              // 00000000864C: 0B0B0B1D
	v_mul_f32_e32 v134, v29, v134                              // 000000008650: 0B0D0D1D
	v_mul_f32_e32 v135, v29, v135                              // 000000008654: 0B0F0F1D
	v_cvt_pk_fp8_f32 v129, v132, v133                          // 000000008658: D2A20081 00030B84
	v_cvt_pk_fp8_f32 v129, v134, v135 op_sel:[0,0,1]           // 000000008660: D2A24081 00030F86
	v_mul_f32_e32 v136, v28, v136                              // 000000008668: 0B11111C
	v_mul_f32_e32 v137, v28, v137                              // 00000000866C: 0B13131C
	v_mul_f32_e32 v138, v28, v138                              // 000000008670: 0B15151C
	v_mul_f32_e32 v139, v28, v139                              // 000000008674: 0B17171C
	v_cvt_pk_fp8_f32 v130, v136, v137                          // 000000008678: D2A20082 00031388
	v_cvt_pk_fp8_f32 v130, v138, v139 op_sel:[0,0,1]           // 000000008680: D2A24082 0003178A
	v_mul_f32_e32 v140, v29, v140                              // 000000008688: 0B19191D
	v_mul_f32_e32 v141, v29, v141                              // 00000000868C: 0B1B1B1D
	v_mul_f32_e32 v142, v29, v142                              // 000000008690: 0B1D1D1D
	v_mul_f32_e32 v143, v29, v143                              // 000000008694: 0B1F1F1D
	v_cvt_pk_fp8_f32 v131, v140, v141                          // 000000008698: D2A20083 00031B8C
	v_cvt_pk_fp8_f32 v131, v142, v143 op_sel:[0,0,1]           // 0000000086A0: D2A24083 00031F8E
	v_rcp_f32_e32 v32, v28                                     // 0000000086A8: 7E40451C
	v_rcp_f32_e32 v33, v29                                     // 0000000086AC: 7E42451D
	v_mov_b32_e32 v30, 0x358637bd                              // 0000000086B0: 7E3C02FF 358637BD
	v_mov_b32_e32 v31, 0x358637bd                              // 0000000086B8: 7E3E02FF 358637BD
	v_max3_f32 v30, |v144|, |v145|, v30                        // 0000000086C0: D1D3031E 047B2390
	v_max3_f32 v30, |v146|, |v147|, v30                        // 0000000086C8: D1D3031E 047B2792
	v_max3_f32 v31, |v148|, |v149|, v31                        // 0000000086D0: D1D3031F 047F2B94
	v_max3_f32 v31, |v150|, |v151|, v31                        // 0000000086D8: D1D3031F 047F2F96
	v_max3_f32 v30, |v152|, |v153|, v30                        // 0000000086E0: D1D3031E 047B3398
	v_max3_f32 v30, |v154|, |v155|, v30                        // 0000000086E8: D1D3031E 047B379A
	v_max3_f32 v31, |v156|, |v157|, v31                        // 0000000086F0: D1D3031F 047F3B9C
	v_max3_f32 v31, |v158|, |v159|, v31                        // 0000000086F8: D1D3031F 047F3F9E
	v_lshlrev_b32_e32 v56, 3, v0                               // 000000008700: 24700083
	s_mul_i32 s60, 0x200, s7                                   // 000000008704: 923C07FF 00000200
	v_add_u32_e32 v56, s60, v56                                // 00000000870C: 6870703C
	ds_write_b64 v56, v[30:31] offset:18688                    // 000000008710: D89A4900 00001E38
	s_waitcnt lgkmcnt(0)                                       // 000000008718: BF8CC07F
	s_barrier                                                  // 00000000871C: BF8A0000
	v_and_b32_e32 v56, 15, v0                                  // 000000008720: 2670008F
	v_lshlrev_b32_e32 v56, 3, v56                              // 000000008724: 24707083
	ds_read_b64 v[96:97], v56 offset:18688                     // 000000008728: D8EC4900 60000038
	ds_read_b64 v[98:99], v56 offset:18816                     // 000000008730: D8EC4980 62000038
	ds_read_b64 v[100:101], v56 offset:18944                   // 000000008738: D8EC4A00 64000038
	ds_read_b64 v[102:103], v56 offset:19072                   // 000000008740: D8EC4A80 66000038
	ds_read_b64 v[104:105], v56 offset:19200                   // 000000008748: D8EC4B00 68000038
	ds_read_b64 v[106:107], v56 offset:19328                   // 000000008750: D8EC4B80 6A000038
	ds_read_b64 v[108:109], v56 offset:19456                   // 000000008758: D8EC4C00 6C000038
	ds_read_b64 v[110:111], v56 offset:19584                   // 000000008760: D8EC4C80 6E000038
	ds_read_b64 v[112:113], v56 offset:19712                   // 000000008768: D8EC4D00 70000038
	ds_read_b64 v[114:115], v56 offset:19840                   // 000000008770: D8EC4D80 72000038
	ds_read_b64 v[116:117], v56 offset:19968                   // 000000008778: D8EC4E00 74000038
	ds_read_b64 v[118:119], v56 offset:20096                   // 000000008780: D8EC4E80 76000038
	ds_read_b64 v[120:121], v56 offset:20224                   // 000000008788: D8EC4F00 78000038
	ds_read_b64 v[122:123], v56 offset:20352                   // 000000008790: D8EC4F80 7A000038
	ds_read_b64 v[124:125], v56 offset:20480                   // 000000008798: D8EC5000 7C000038
	ds_read_b64 v[126:127], v56 offset:20608                   // 0000000087A0: D8EC5080 7E000038
	s_waitcnt lgkmcnt(0)                                       // 0000000087A8: BF8CC07F
	v_max3_f32 v30, |v96|, |v98|, v30                          // 0000000087AC: D1D3031E 047AC560
	v_max3_f32 v31, |v97|, |v99|, v31                          // 0000000087B4: D1D3031F 047EC761
	v_max3_f32 v30, |v100|, |v102|, v30                        // 0000000087BC: D1D3031E 047ACD64
	v_max3_f32 v31, |v101|, |v103|, v31                        // 0000000087C4: D1D3031F 047ECF65
	v_max3_f32 v30, |v104|, |v106|, v30                        // 0000000087CC: D1D3031E 047AD568
	v_max3_f32 v31, |v105|, |v107|, v31                        // 0000000087D4: D1D3031F 047ED769
	v_max3_f32 v30, |v108|, |v110|, v30                        // 0000000087DC: D1D3031E 047ADD6C
	v_max3_f32 v31, |v109|, |v111|, v31                        // 0000000087E4: D1D3031F 047EDF6D
	v_max3_f32 v30, |v112|, |v114|, v30                        // 0000000087EC: D1D3031E 047AE570
	v_max3_f32 v31, |v113|, |v115|, v31                        // 0000000087F4: D1D3031F 047EE771
	v_max3_f32 v30, |v116|, |v118|, v30                        // 0000000087FC: D1D3031E 047AED74
	v_max3_f32 v31, |v117|, |v119|, v31                        // 000000008804: D1D3031F 047EEF75
	v_max3_f32 v30, |v120|, |v122|, v30                        // 00000000880C: D1D3031E 047AF578
	v_max3_f32 v31, |v121|, |v123|, v31                        // 000000008814: D1D3031F 047EF779
	v_max3_f32 v30, |v124|, |v126|, v30                        // 00000000881C: D1D3031E 047AFD7C
	v_max3_f32 v31, |v125|, |v127|, v31                        // 000000008824: D1D3031F 047EFF7D
	v_rcp_f32_e32 v30, v30                                     // 00000000882C: 7E3C451E
	v_rcp_f32_e32 v31, v31                                     // 000000008830: 7E3E451F
	v_mov_b32_e32 v56, 0x43700000                              // 000000008834: 7E7002FF 43700000
	v_mul_f32_e32 v30, v56, v30                                // 00000000883C: 0A3C3D38
	v_mul_f32_e32 v31, v56, v31                                // 000000008840: 0A3E3F38
	v_mul_f32_e32 v144, v30, v144                              // 000000008844: 0B21211E
	v_mul_f32_e32 v145, v30, v145                              // 000000008848: 0B23231E
	v_mul_f32_e32 v146, v30, v146                              // 00000000884C: 0B25251E
	v_mul_f32_e32 v147, v30, v147                              // 000000008850: 0B27271E
	v_cvt_pk_fp8_f32 v132, v144, v145                          // 000000008854: D2A20084 00032390
	v_cvt_pk_fp8_f32 v132, v146, v147 op_sel:[0,0,1]           // 00000000885C: D2A24084 00032792
	v_mul_f32_e32 v148, v31, v148                              // 000000008864: 0B29291F
	v_mul_f32_e32 v149, v31, v149                              // 000000008868: 0B2B2B1F
	v_mul_f32_e32 v150, v31, v150                              // 00000000886C: 0B2D2D1F
	v_mul_f32_e32 v151, v31, v151                              // 000000008870: 0B2F2F1F
	v_cvt_pk_fp8_f32 v133, v148, v149                          // 000000008874: D2A20085 00032B94
	v_cvt_pk_fp8_f32 v133, v150, v151 op_sel:[0,0,1]           // 00000000887C: D2A24085 00032F96
	v_mul_f32_e32 v152, v30, v152                              // 000000008884: 0B31311E
	v_mul_f32_e32 v153, v30, v153                              // 000000008888: 0B33331E
	v_mul_f32_e32 v154, v30, v154                              // 00000000888C: 0B35351E
	v_mul_f32_e32 v155, v30, v155                              // 000000008890: 0B37371E
	v_cvt_pk_fp8_f32 v134, v152, v153                          // 000000008894: D2A20086 00033398
	v_cvt_pk_fp8_f32 v134, v154, v155 op_sel:[0,0,1]           // 00000000889C: D2A24086 0003379A
	v_mul_f32_e32 v156, v31, v156                              // 0000000088A4: 0B39391F
	v_mul_f32_e32 v157, v31, v157                              // 0000000088A8: 0B3B3B1F
	v_mul_f32_e32 v158, v31, v158                              // 0000000088AC: 0B3D3D1F
	v_mul_f32_e32 v159, v31, v159                              // 0000000088B0: 0B3F3F1F
	v_cvt_pk_fp8_f32 v135, v156, v157                          // 0000000088B4: D2A20087 00033B9C
	v_cvt_pk_fp8_f32 v135, v158, v159 op_sel:[0,0,1]           // 0000000088BC: D2A24087 00033F9E
	v_rcp_f32_e32 v34, v30                                     // 0000000088C4: 7E44451E
	v_rcp_f32_e32 v35, v31                                     // 0000000088C8: 7E46451F
	v_lshrrev_b32_e32 v56, 5, v0                               // 0000000088CC: 20700085
	v_lshlrev_b32_e32 v57, 5, v56                              // 0000000088D0: 24727085
	v_and_b32_e32 v56, 31, v0                                  // 0000000088D4: 2670009F
	v_lshrrev_b32_e32 v58, 4, v56                              // 0000000088D8: 20747084
	v_add_u32_e32 v57, v58, v57                                // 0000000088DC: 6872733A
	v_and_b32_e32 v56, 15, v0                                  // 0000000088E0: 2670008F
	v_lshlrev_b32_e32 v56, 1, v56                              // 0000000088E4: 24707081
	v_add_u32_e32 v57, v56, v57                                // 0000000088E8: 68727338
	v_lshlrev_b32_e32 v56, 2, v57                              // 0000000088EC: 24707282
	s_mul_i32 s60, 0x100, s7                                   // 0000000088F0: 923C07FF 00000100
	v_add_u32_e64 v56, v56, s60                                // 0000000088F8: D1340038 00007938
	ds_write_b32 v56, v128 offset:20736                        // 000000008900: D81A5100 00008038
	ds_write_b32 v56, v129 offset:24832                        // 000000008908: D81A6100 00008138
	ds_write_b32 v56, v130 offset:21760                        // 000000008910: D81A5500 00008238
	ds_write_b32 v56, v131 offset:25856                        // 000000008918: D81A6500 00008338
	ds_write_b32 v56, v132 offset:22784                        // 000000008920: D81A5900 00008438
	ds_write_b32 v56, v133 offset:26880                        // 000000008928: D81A6900 00008538
	ds_write_b32 v56, v134 offset:23808                        // 000000008930: D81A5D00 00008638
	ds_write_b32 v56, v135 offset:27904                        // 000000008938: D81A6D00 00008738
	s_waitcnt lgkmcnt(0)                                       // 000000008940: BF8CC07F
	s_barrier                                                  // 000000008944: BF8A0000
	v_lshrrev_b32_e32 v56, 4, v0                               // 000000008948: 20700084
	v_lshlrev_b32_e32 v57, 6, v56                              // 00000000894C: 24727086
	v_and_b32_e32 v56, 15, v0                                  // 000000008950: 2670008F
	v_lshlrev_b32_e32 v56, 1, v56                              // 000000008954: 24707081
	v_add_u32_e32 v57, v56, v57                                // 000000008958: 68727338
	v_lshlrev_b32_e32 v56, 2, v57                              // 00000000895C: 24707282
	ds_read_b64 v[128:129], v56 offset:20736                   // 000000008960: D8EC5100 80000038
	ds_read_b64 v[130:131], v56 offset:20864                   // 000000008968: D8EC5180 82000038
	ds_read_b64 v[132:133], v56 offset:21760                   // 000000008970: D8EC5500 84000038
	ds_read_b64 v[134:135], v56 offset:21888                   // 000000008978: D8EC5580 86000038
	ds_read_b64 v[136:137], v56 offset:22784                   // 000000008980: D8EC5900 88000038
	ds_read_b64 v[138:139], v56 offset:22912                   // 000000008988: D8EC5980 8A000038
	ds_read_b64 v[140:141], v56 offset:23808                   // 000000008990: D8EC5D00 8C000038
	ds_read_b64 v[142:143], v56 offset:23936                   // 000000008998: D8EC5D80 8E000038
	ds_read_b64 v[144:145], v56 offset:24832                   // 0000000089A0: D8EC6100 90000038
	ds_read_b64 v[146:147], v56 offset:24960                   // 0000000089A8: D8EC6180 92000038
	ds_read_b64 v[148:149], v56 offset:25856                   // 0000000089B0: D8EC6500 94000038
	ds_read_b64 v[150:151], v56 offset:25984                   // 0000000089B8: D8EC6580 96000038
	ds_read_b64 v[152:153], v56 offset:26880                   // 0000000089C0: D8EC6900 98000038
	ds_read_b64 v[154:155], v56 offset:27008                   // 0000000089C8: D8EC6980 9A000038
	ds_read_b64 v[156:157], v56 offset:27904                   // 0000000089D0: D8EC6D00 9C000038
	ds_read_b64 v[158:159], v56 offset:28032                   // 0000000089D8: D8EC6D80 9E000038
	s_add_u32 s12, s56, s12                                    // 0000000089E0: 800C0C38
	s_addc_u32 s13, 0, s13                                     // 0000000089E4: 820D0D80
	s_add_u32 s16, s79, s16                                    // 0000000089E8: 8010104F
	s_addc_u32 s17, 0, s17                                     // 0000000089EC: 82111180
	s_waitcnt lgkmcnt(0)                                       // 0000000089F0: BF8CC07F
	s_barrier                                                  // 0000000089F4: BF8A0000
	v_mov_b32_e32 v192, 0                                      // 0000000089F8: 7F800280
	v_mov_b32_e32 v224, 0                                      // 0000000089FC: 7FC00280
	v_mov_b32_e32 v193, 0                                      // 000000008A00: 7F820280
	v_mov_b32_e32 v225, 0                                      // 000000008A04: 7FC20280
	v_mov_b32_e32 v194, 0                                      // 000000008A08: 7F840280
	v_mov_b32_e32 v226, 0                                      // 000000008A0C: 7FC40280
	v_mov_b32_e32 v195, 0                                      // 000000008A10: 7F860280
	v_mov_b32_e32 v227, 0                                      // 000000008A14: 7FC60280
	v_mov_b32_e32 v196, 0                                      // 000000008A18: 7F880280
	v_mov_b32_e32 v228, 0                                      // 000000008A1C: 7FC80280
	v_mov_b32_e32 v197, 0                                      // 000000008A20: 7F8A0280
	v_mov_b32_e32 v229, 0                                      // 000000008A24: 7FCA0280
	v_mov_b32_e32 v198, 0                                      // 000000008A28: 7F8C0280
	v_mov_b32_e32 v230, 0                                      // 000000008A2C: 7FCC0280
	v_mov_b32_e32 v199, 0                                      // 000000008A30: 7F8E0280
	v_mov_b32_e32 v231, 0                                      // 000000008A34: 7FCE0280
	v_mov_b32_e32 v200, 0                                      // 000000008A38: 7F900280
	v_mov_b32_e32 v232, 0                                      // 000000008A3C: 7FD00280
	v_mov_b32_e32 v201, 0                                      // 000000008A40: 7F920280
	v_mov_b32_e32 v233, 0                                      // 000000008A44: 7FD20280
	v_mov_b32_e32 v202, 0                                      // 000000008A48: 7F940280
	v_mov_b32_e32 v234, 0                                      // 000000008A4C: 7FD40280
	v_mov_b32_e32 v203, 0                                      // 000000008A50: 7F960280
	v_mov_b32_e32 v235, 0                                      // 000000008A54: 7FD60280
	v_mov_b32_e32 v204, 0                                      // 000000008A58: 7F980280
	v_mov_b32_e32 v236, 0                                      // 000000008A5C: 7FD80280
	v_mov_b32_e32 v205, 0                                      // 000000008A60: 7F9A0280
	v_mov_b32_e32 v237, 0                                      // 000000008A64: 7FDA0280
	v_mov_b32_e32 v206, 0                                      // 000000008A68: 7F9C0280
	v_mov_b32_e32 v238, 0                                      // 000000008A6C: 7FDC0280
	v_mov_b32_e32 v207, 0                                      // 000000008A70: 7F9E0280
	v_mov_b32_e32 v239, 0                                      // 000000008A74: 7FDE0280
	ds_write_b64 v4, v[192:193] offset:20736                   // 000000008A78: D89A5100 0000C004
	ds_write_b64 v4, v[194:195] offset:29440                   // 000000008A80: D89A7300 0000C204
	ds_write_b64 v4, v[196:197] offset:22912                   // 000000008A88: D89A5980 0000C404
	ds_write_b64 v4, v[198:199] offset:31616                   // 000000008A90: D89A7B80 0000C604
	ds_write_b64 v4, v[200:201] offset:25088                   // 000000008A98: D89A6200 0000C804
	ds_write_b64 v4, v[202:203] offset:33792                   // 000000008AA0: D89A8400 0000CA04
	ds_write_b64 v4, v[204:205] offset:27264                   // 000000008AA8: D89A6A80 0000CC04
	ds_write_b64 v4, v[206:207] offset:35968                   // 000000008AB0: D89A8C80 0000CE04
	s_mov_b32 s80, 0                                           // 000000008AB8: BED00080
	s_waitcnt vmcnt(0) expcnt(0) lgkmcnt(0)                    // 000000008ABC: BF8C0000

0000000000008ac0 <label_1730>:
	s_waitcnt vmcnt(12) lgkmcnt(0)                             // 000000008AC0: BF8C007C
	s_barrier                                                  // 000000008AC4: BF8A0000
	v_mfma_f32_16x16x32_fp8_fp8 v[192:195], a[0:1], v[128:129], 0// 000000008AC8: D3F300C0 0A030100
	buffer_load_dwordx4 a[64:67], v48, s[12:15], 0 offen       // 000000008AD0: E05C1000 80834030
	v_mfma_f32_16x16x32_fp8_fp8 v[192:195], a[2:3], v[130:131], v[192:195]// 000000008AD8: D3F300C0 0F030502
	ds_read_b32 v64, v5 offset:20736                           // 000000008AE0: D86C5100 40000005
	ds_read_b32 v65, v5 offset:25088                           // 000000008AE8: D86C6200 41000005
	v_mfma_f32_16x16x32_fp8_fp8 v[196:199], a[0:1], v[144:145], 0// 000000008AF0: D3F300C4 0A032100
	buffer_load_dword v24, v6, s[16:19], 0 offen               // 000000008AF8: E0501000 80041806
	v_mfma_f32_16x16x32_fp8_fp8 v[196:199], a[2:3], v[146:147], v[196:199]// 000000008B00: D3F300C4 0F132502
	ds_read_b32 v66, v5 offset:20768                           // 000000008B08: D86C5120 42000005
	ds_read_b32 v67, v5 offset:25120                           // 000000008B10: D86C6220 43000005
	v_mfma_f32_16x16x32_fp8_fp8 v[200:203], a[4:5], v[128:129], 0// 000000008B18: D3F300C8 0A030104
	buffer_load_dwordx4 a[68:71], v49, s[12:15], 0 offen       // 000000008B20: E05C1000 80834431
	v_mfma_f32_16x16x32_fp8_fp8 v[200:203], a[6:7], v[130:131], v[200:203]// 000000008B28: D3F300C8 0F230506
	ds_read_b32 v68, v5 offset:20800                           // 000000008B30: D86C5140 44000005
	ds_read_b32 v69, v5 offset:25152                           // 000000008B38: D86C6240 45000005
	v_mfma_f32_16x16x32_fp8_fp8 v[204:207], a[4:5], v[144:145], 0// 000000008B40: D3F300CC 0A032104
	v_mfma_f32_16x16x32_fp8_fp8 v[204:207], a[6:7], v[146:147], v[204:207]// 000000008B48: D3F300CC 0F332506
	ds_read_b32 v70, v5 offset:20832                           // 000000008B50: D86C5160 46000005
	ds_read_b32 v71, v5 offset:25184                           // 000000008B58: D86C6260 47000005
	v_mfma_f32_16x16x32_fp8_fp8 v[208:211], a[8:9], v[128:129], 0// 000000008B60: D3F300D0 0A030108
	buffer_load_dwordx4 a[72:75], v50, s[12:15], 0 offen       // 000000008B68: E05C1000 80834832
	v_mfma_f32_16x16x32_fp8_fp8 v[208:211], a[10:11], v[130:131], v[208:211]// 000000008B70: D3F300D0 0F43050A
	ds_read_b32 v72, v5 offset:29440                           // 000000008B78: D86C7300 48000005
	ds_read_b32 v73, v5 offset:33792                           // 000000008B80: D86C8400 49000005
	v_mfma_f32_16x16x32_fp8_fp8 v[212:215], a[8:9], v[144:145], 0// 000000008B88: D3F300D4 0A032108
	v_mfma_f32_16x16x32_fp8_fp8 v[212:215], a[10:11], v[146:147], v[212:215]// 000000008B90: D3F300D4 0F53250A
	ds_read_b32 v74, v5 offset:29472                           // 000000008B98: D86C7320 4A000005
	ds_read_b32 v75, v5 offset:33824                           // 000000008BA0: D86C8420 4B000005
	v_mfma_f32_16x16x32_fp8_fp8 v[216:219], a[12:13], v[128:129], 0// 000000008BA8: D3F300D8 0A03010C
	buffer_load_dwordx4 a[76:79], v51, s[12:15], 0 offen       // 000000008BB0: E05C1000 80834C33
	s_add_u32 s12, s78, s12                                    // 000000008BB8: 800C0C4E
	s_addc_u32 s13, 0, s13                                     // 000000008BBC: 820D0D80
	v_mfma_f32_16x16x32_fp8_fp8 v[216:219], a[14:15], v[130:131], v[216:219]// 000000008BC0: D3F300D8 0F63050E
	ds_read_b32 v76, v5 offset:29504                           // 000000008BC8: D86C7340 4C000005
	ds_read_b32 v77, v5 offset:33856                           // 000000008BD0: D86C8440 4D000005
	v_mfma_f32_16x16x32_fp8_fp8 v[220:223], a[12:13], v[144:145], 0// 000000008BD8: D3F300DC 0A03210C
	v_mfma_f32_16x16x32_fp8_fp8 v[220:223], a[14:15], v[146:147], v[220:223]// 000000008BE0: D3F300DC 0F73250E
	ds_read_b32 v78, v5 offset:29536                           // 000000008BE8: D86C7360 4E000005
	ds_read_b32 v79, v5 offset:33888                           // 000000008BF0: D86C8460 4F000005
	s_waitcnt vmcnt(13)                                        // 000000008BF8: BF8C0F7D
	v_mfma_f32_16x16x32_fp8_fp8 v[192:195], a[16:17], v[132:133], v[192:195]// 000000008BFC: D3F300C0 0F030910
	buffer_load_dwordx4 a[80:83], v48, s[12:15], 0 offen       // 000000008C04: E05C1000 80835030
	v_mfma_f32_16x16x32_fp8_fp8 v[192:195], a[18:19], v[134:135], v[192:195]// 000000008C0C: D3F300C0 0F030D12
	v_mfma_f32_16x16x32_fp8_fp8 v[196:199], a[16:17], v[148:149], v[196:199]// 000000008C14: D3F300C4 0F132910
	v_mfma_f32_16x16x32_fp8_fp8 v[196:199], a[18:19], v[150:151], v[196:199]// 000000008C1C: D3F300C4 0F132D12
	v_mfma_f32_16x16x32_fp8_fp8 v[200:203], a[20:21], v[132:133], v[200:203]// 000000008C24: D3F300C8 0F230914
	buffer_load_dwordx4 a[84:87], v49, s[12:15], 0 offen       // 000000008C2C: E05C1000 80835431
	v_mfma_f32_16x16x32_fp8_fp8 v[200:203], a[22:23], v[134:135], v[200:203]// 000000008C34: D3F300C8 0F230D16
	v_mfma_f32_16x16x32_fp8_fp8 v[204:207], a[20:21], v[148:149], v[204:207]// 000000008C3C: D3F300CC 0F332914
	v_mfma_f32_16x16x32_fp8_fp8 v[204:207], a[22:23], v[150:151], v[204:207]// 000000008C44: D3F300CC 0F332D16
	v_mfma_f32_16x16x32_fp8_fp8 v[208:211], a[24:25], v[132:133], v[208:211]// 000000008C4C: D3F300D0 0F430918
	buffer_load_dwordx4 a[88:91], v50, s[12:15], 0 offen       // 000000008C54: E05C1000 80835832
	v_mfma_f32_16x16x32_fp8_fp8 v[208:211], a[26:27], v[134:135], v[208:211]// 000000008C5C: D3F300D0 0F430D1A
	v_mfma_f32_16x16x32_fp8_fp8 v[212:215], a[24:25], v[148:149], v[212:215]// 000000008C64: D3F300D4 0F532918
	v_mfma_f32_16x16x32_fp8_fp8 v[212:215], a[26:27], v[150:151], v[212:215]// 000000008C6C: D3F300D4 0F532D1A
	v_mfma_f32_16x16x32_fp8_fp8 v[216:219], a[28:29], v[132:133], v[216:219]// 000000008C74: D3F300D8 0F63091C
	buffer_load_dwordx4 a[92:95], v51, s[12:15], 0 offen       // 000000008C7C: E05C1000 80835C33
	s_add_u32 s12, s78, s12                                    // 000000008C84: 800C0C4E
	s_addc_u32 s13, 0, s13                                     // 000000008C88: 820D0D80
	v_mfma_f32_16x16x32_fp8_fp8 v[216:219], a[30:31], v[134:135], v[216:219]// 000000008C8C: D3F300D8 0F630D1E
	v_mfma_f32_16x16x32_fp8_fp8 v[220:223], a[28:29], v[148:149], v[220:223]// 000000008C94: D3F300DC 0F73291C
	v_mfma_f32_16x16x32_fp8_fp8 v[220:223], a[30:31], v[150:151], v[220:223]// 000000008C9C: D3F300DC 0F732D1E
	v_mul_f32_dpp v56, v23, v32 row_newbcast:0 row_mask:0xf bank_mask:0xf// 000000008CA4: 0A7040FA FF015017
	v_mov_b32_e32 v57, v56                                     // 000000008CAC: 7E720338
	v_pk_mul_f32 v[192:193], v[56:57], v[192:193]              // 000000008CB0: D3B140C0 18038138
	v_pk_mul_f32 v[194:195], v[56:57], v[194:195]              // 000000008CB8: D3B140C2 18038538
	v_pk_mul_f32 v[200:201], v[56:57], v[200:201]              // 000000008CC0: D3B140C8 18039138
	v_pk_mul_f32 v[202:203], v[56:57], v[202:203]              // 000000008CC8: D3B140CA 18039538
	v_mul_f32_dpp v56, v23, v32 row_newbcast:1 row_mask:0xf bank_mask:0xf// 000000008CD0: 0A7040FA FF015117
	v_mov_b32_e32 v57, v56                                     // 000000008CD8: 7E720338
	v_pk_mul_f32 v[208:209], v[56:57], v[208:209]              // 000000008CDC: D3B140D0 1803A138
	v_pk_mul_f32 v[210:211], v[56:57], v[210:211]              // 000000008CE4: D3B140D2 1803A538
	v_pk_mul_f32 v[216:217], v[56:57], v[216:217]              // 000000008CEC: D3B140D8 1803B138
	v_pk_mul_f32 v[218:219], v[56:57], v[218:219]              // 000000008CF4: D3B140DA 1803B538
	v_mul_f32_dpp v56, v23, v33 row_newbcast:0 row_mask:0xf bank_mask:0xf// 000000008CFC: 0A7042FA FF015017
	v_mov_b32_e32 v57, v56                                     // 000000008D04: 7E720338
	v_pk_mul_f32 v[196:197], v[56:57], v[196:197]              // 000000008D08: D3B140C4 18038938
	v_pk_mul_f32 v[198:199], v[56:57], v[198:199]              // 000000008D10: D3B140C6 18038D38
	v_pk_mul_f32 v[204:205], v[56:57], v[204:205]              // 000000008D18: D3B140CC 18039938
	v_pk_mul_f32 v[206:207], v[56:57], v[206:207]              // 000000008D20: D3B140CE 18039D38
	v_mul_f32_dpp v56, v23, v33 row_newbcast:1 row_mask:0xf bank_mask:0xf// 000000008D28: 0A7042FA FF015117
	v_mov_b32_e32 v57, v56                                     // 000000008D30: 7E720338
	v_pk_mul_f32 v[212:213], v[56:57], v[212:213]              // 000000008D34: D3B140D4 1803A938
	v_pk_mul_f32 v[214:215], v[56:57], v[214:215]              // 000000008D3C: D3B140D6 1803AD38
	v_pk_mul_f32 v[220:221], v[56:57], v[220:221]              // 000000008D44: D3B140DC 1803B938
	v_pk_mul_f32 v[222:223], v[56:57], v[222:223]              // 000000008D4C: D3B140DE 1803BD38
	s_waitcnt vmcnt(13)                                        // 000000008D54: BF8C0F7D
	v_mfma_f32_16x16x32_fp8_fp8 v[160:163], a[32:33], v[136:137], 0// 000000008D58: D3F300A0 0A031120
	buffer_load_dwordx4 a[96:99], v48, s[12:15], 0 offen       // 000000008D60: E05C1000 80836030
	v_mfma_f32_16x16x32_fp8_fp8 v[160:163], a[34:35], v[138:139], v[160:163]// 000000008D68: D3F300A0 0E831522
	ds_write_b64 v4, v[224:225] offset:38144                   // 000000008D70: D89A9500 0000E004
	v_mfma_f32_16x16x32_fp8_fp8 v[164:167], a[32:33], v[152:153], 0// 000000008D78: D3F300A4 0A033120
	v_mfma_f32_16x16x32_fp8_fp8 v[164:167], a[34:35], v[154:155], v[164:167]// 000000008D80: D3F300A4 0E933522
	ds_write_b64 v4, v[226:227] offset:46848                   // 000000008D88: D89AB700 0000E204
	v_mfma_f32_16x16x32_fp8_fp8 v[168:171], a[36:37], v[136:137], 0// 000000008D90: D3F300A8 0A031124
	buffer_load_dwordx4 a[100:103], v49, s[12:15], 0 offen     // 000000008D98: E05C1000 80836431
	v_mfma_f32_16x16x32_fp8_fp8 v[168:171], a[38:39], v[138:139], v[168:171]// 000000008DA0: D3F300A8 0EA31526
	ds_write_b64 v4, v[228:229] offset:40320                   // 000000008DA8: D89A9D80 0000E404
	v_mfma_f32_16x16x32_fp8_fp8 v[172:175], a[36:37], v[152:153], 0// 000000008DB0: D3F300AC 0A033124
	v_mfma_f32_16x16x32_fp8_fp8 v[172:175], a[38:39], v[154:155], v[172:175]// 000000008DB8: D3F300AC 0EB33526
	ds_write_b64 v4, v[230:231] offset:49024                   // 000000008DC0: D89ABF80 0000E604
	v_mfma_f32_16x16x32_fp8_fp8 v[176:179], a[40:41], v[136:137], 0// 000000008DC8: D3F300B0 0A031128
	buffer_load_dwordx4 a[104:107], v50, s[12:15], 0 offen     // 000000008DD0: E05C1000 80836832
	v_mfma_f32_16x16x32_fp8_fp8 v[176:179], a[42:43], v[138:139], v[176:179]// 000000008DD8: D3F300B0 0EC3152A
	ds_write_b64 v4, v[232:233] offset:42496                   // 000000008DE0: D89AA600 0000E804
	v_mfma_f32_16x16x32_fp8_fp8 v[180:183], a[40:41], v[152:153], 0// 000000008DE8: D3F300B4 0A033128
	v_mfma_f32_16x16x32_fp8_fp8 v[180:183], a[42:43], v[154:155], v[180:183]// 000000008DF0: D3F300B4 0ED3352A
	ds_write_b64 v4, v[234:235] offset:51200                   // 000000008DF8: D89AC800 0000EA04
	v_mfma_f32_16x16x32_fp8_fp8 v[184:187], a[44:45], v[136:137], 0// 000000008E00: D3F300B8 0A03112C
	buffer_load_dwordx4 a[108:111], v51, s[12:15], 0 offen     // 000000008E08: E05C1000 80836C33
	s_add_u32 s12, s78, s12                                    // 000000008E10: 800C0C4E
	s_addc_u32 s13, 0, s13                                     // 000000008E14: 820D0D80
	v_mfma_f32_16x16x32_fp8_fp8 v[184:187], a[46:47], v[138:139], v[184:187]// 000000008E18: D3F300B8 0EE3152E
	ds_write_b64 v4, v[236:237] offset:44672                   // 000000008E20: D89AAE80 0000EC04
	v_mfma_f32_16x16x32_fp8_fp8 v[188:191], a[44:45], v[152:153], 0// 000000008E28: D3F300BC 0A03312C
	v_mfma_f32_16x16x32_fp8_fp8 v[188:191], a[46:47], v[154:155], v[188:191]// 000000008E30: D3F300BC 0EF3352E
	ds_write_b64 v4, v[238:239] offset:53376                   // 000000008E38: D89AD080 0000EE04
	s_waitcnt vmcnt(13)                                        // 000000008E40: BF8C0F7D
	v_mfma_f32_16x16x32_fp8_fp8 v[160:163], a[48:49], v[140:141], v[160:163]// 000000008E44: D3F300A0 0E831930
	buffer_load_dwordx4 a[112:115], v48, s[12:15], 0 offen     // 000000008E4C: E05C1000 80837030
	v_mfma_f32_16x16x32_fp8_fp8 v[160:163], a[50:51], v[142:143], v[160:163]// 000000008E54: D3F300A0 0E831D32
	v_mfma_f32_16x16x32_fp8_fp8 v[164:167], a[48:49], v[156:157], v[164:167]// 000000008E5C: D3F300A4 0E933930
	v_mfma_f32_16x16x32_fp8_fp8 v[164:167], a[50:51], v[158:159], v[164:167]// 000000008E64: D3F300A4 0E933D32
	v_mfma_f32_16x16x32_fp8_fp8 v[168:171], a[52:53], v[140:141], v[168:171]// 000000008E6C: D3F300A8 0EA31934
	buffer_load_dwordx4 a[116:119], v49, s[12:15], 0 offen     // 000000008E74: E05C1000 80837431
	v_mfma_f32_16x16x32_fp8_fp8 v[168:171], a[54:55], v[142:143], v[168:171]// 000000008E7C: D3F300A8 0EA31D36
	v_mfma_f32_16x16x32_fp8_fp8 v[172:175], a[52:53], v[156:157], v[172:175]// 000000008E84: D3F300AC 0EB33934
	v_mfma_f32_16x16x32_fp8_fp8 v[172:175], a[54:55], v[158:159], v[172:175]// 000000008E8C: D3F300AC 0EB33D36
	v_mfma_f32_16x16x32_fp8_fp8 v[176:179], a[56:57], v[140:141], v[176:179]// 000000008E94: D3F300B0 0EC31938
	buffer_load_dwordx4 a[120:123], v50, s[12:15], 0 offen     // 000000008E9C: E05C1000 80837832
	v_mfma_f32_16x16x32_fp8_fp8 v[176:179], a[58:59], v[142:143], v[176:179]// 000000008EA4: D3F300B0 0EC31D3A
	v_mfma_f32_16x16x32_fp8_fp8 v[180:183], a[56:57], v[156:157], v[180:183]// 000000008EAC: D3F300B4 0ED33938
	v_mfma_f32_16x16x32_fp8_fp8 v[180:183], a[58:59], v[158:159], v[180:183]// 000000008EB4: D3F300B4 0ED33D3A
	v_mfma_f32_16x16x32_fp8_fp8 v[184:187], a[60:61], v[140:141], v[184:187]// 000000008EBC: D3F300B8 0EE3193C
	buffer_load_dwordx4 a[124:127], v51, s[12:15], 0 offen     // 000000008EC4: E05C1000 80837C33
	v_mfma_f32_16x16x32_fp8_fp8 v[184:187], a[62:63], v[142:143], v[184:187]// 000000008ECC: D3F300B8 0EE31D3E
	v_mfma_f32_16x16x32_fp8_fp8 v[188:191], a[60:61], v[156:157], v[188:191]// 000000008ED4: D3F300BC 0EF3393C
	v_mfma_f32_16x16x32_fp8_fp8 v[188:191], a[62:63], v[158:159], v[188:191]// 000000008EDC: D3F300BC 0EF33D3E
	v_mul_f32_dpp v56, v23, v34 row_newbcast:2 row_mask:0xf bank_mask:0xf// 000000008EE4: 0A7044FA FF015217
	v_mov_b32_e32 v57, v56                                     // 000000008EEC: 7E720338
	v_pk_fma_f32 v[192:193], v[160:161], v[56:57], v[192:193]  // 000000008EF0: D3B040C0 1F0271A0
	v_pk_fma_f32 v[194:195], v[162:163], v[56:57], v[194:195]  // 000000008EF8: D3B040C2 1F0A71A2
	v_pk_fma_f32 v[200:201], v[168:169], v[56:57], v[200:201]  // 000000008F00: D3B040C8 1F2271A8
	v_pk_fma_f32 v[202:203], v[170:171], v[56:57], v[202:203]  // 000000008F08: D3B040CA 1F2A71AA
	v_mul_f32_dpp v56, v23, v34 row_newbcast:3 row_mask:0xf bank_mask:0xf// 000000008F10: 0A7044FA FF015317
	v_mov_b32_e32 v57, v56                                     // 000000008F18: 7E720338
	v_pk_fma_f32 v[208:209], v[176:177], v[56:57], v[208:209]  // 000000008F1C: D3B040D0 1F4271B0
	v_pk_fma_f32 v[210:211], v[178:179], v[56:57], v[210:211]  // 000000008F24: D3B040D2 1F4A71B2
	v_pk_fma_f32 v[216:217], v[184:185], v[56:57], v[216:217]  // 000000008F2C: D3B040D8 1F6271B8
	v_pk_fma_f32 v[218:219], v[186:187], v[56:57], v[218:219]  // 000000008F34: D3B040DA 1F6A71BA
	v_mul_f32_dpp v56, v23, v35 row_newbcast:2 row_mask:0xf bank_mask:0xf// 000000008F3C: 0A7046FA FF015217
	v_mov_b32_e32 v57, v56                                     // 000000008F44: 7E720338
	v_pk_fma_f32 v[196:197], v[164:165], v[56:57], v[196:197]  // 000000008F48: D3B040C4 1F1271A4
	v_pk_fma_f32 v[198:199], v[166:167], v[56:57], v[198:199]  // 000000008F50: D3B040C6 1F1A71A6
	v_pk_fma_f32 v[204:205], v[172:173], v[56:57], v[204:205]  // 000000008F58: D3B040CC 1F3271AC
	v_pk_fma_f32 v[206:207], v[174:175], v[56:57], v[206:207]  // 000000008F60: D3B040CE 1F3A71AE
	v_mul_f32_dpp v56, v23, v35 row_newbcast:3 row_mask:0xf bank_mask:0xf// 000000008F68: 0A7046FA FF015317
	v_mov_b32_e32 v57, v56                                     // 000000008F70: 7E720338
	v_pk_fma_f32 v[212:213], v[180:181], v[56:57], v[212:213]  // 000000008F74: D3B040D4 1F5271B4
	v_pk_fma_f32 v[214:215], v[182:183], v[56:57], v[214:215]  // 000000008F7C: D3B040D6 1F5A71B6
	v_pk_fma_f32 v[220:221], v[188:189], v[56:57], v[220:221]  // 000000008F84: D3B040DC 1F7271BC
	v_pk_fma_f32 v[222:223], v[190:191], v[56:57], v[222:223]  // 000000008F8C: D3B040DE 1F7A71BE
	s_add_u32 s60, 0x200, s80                                  // 000000008F94: 803C50FF 00000200
	s_cmp_lt_u32 s60, s81                                      // 000000008F9C: BF0A513C
	s_cselect_b32 s56, s56, 0                                  // 000000008FA0: 85388038
	s_cselect_b32 s78, s78, 0                                  // 000000008FA4: 854E804E
	s_cselect_b32 s79, s79, 0                                  // 000000008FA8: 854F804F
	s_add_u32 s12, s56, s12                                    // 000000008FAC: 800C0C38
	s_addc_u32 s13, 0, s13                                     // 000000008FB0: 820D0D80
	s_add_u32 s16, s79, s16                                    // 000000008FB4: 8010104F
	s_addc_u32 s17, 0, s17                                     // 000000008FB8: 82111180
	v_mov_b32_e32 v56, v25                                     // 000000008FBC: 7E700319
	v_mov_b32_e32 v57, v25                                     // 000000008FC0: 7E720319
	v_pk_mul_f32 v[192:193], v[56:57], v[192:193]              // 000000008FC4: D3B140C0 18038138
	v_pk_mul_f32 v[194:195], v[56:57], v[194:195]              // 000000008FCC: D3B140C2 18038538
	v_pk_mul_f32 v[200:201], v[56:57], v[200:201]              // 000000008FD4: D3B140C8 18039138
	v_pk_mul_f32 v[202:203], v[56:57], v[202:203]              // 000000008FDC: D3B140CA 18039538
	v_pk_mul_f32 v[208:209], v[56:57], v[208:209]              // 000000008FE4: D3B140D0 1803A138
	v_pk_mul_f32 v[210:211], v[56:57], v[210:211]              // 000000008FEC: D3B140D2 1803A538
	v_pk_mul_f32 v[216:217], v[56:57], v[216:217]              // 000000008FF4: D3B140D8 1803B138
	v_pk_mul_f32 v[218:219], v[56:57], v[218:219]              // 000000008FFC: D3B140DA 1803B538
	v_mov_b32_e32 v56, v26                                     // 000000009004: 7E70031A
	v_mov_b32_e32 v57, v26                                     // 000000009008: 7E72031A
	v_pk_mul_f32 v[196:197], v[56:57], v[196:197]              // 00000000900C: D3B140C4 18038938
	v_pk_mul_f32 v[198:199], v[56:57], v[198:199]              // 000000009014: D3B140C6 18038D38
	v_pk_mul_f32 v[204:205], v[56:57], v[204:205]              // 00000000901C: D3B140CC 18039938
	v_pk_mul_f32 v[206:207], v[56:57], v[206:207]              // 000000009024: D3B140CE 18039D38
	v_pk_mul_f32 v[212:213], v[56:57], v[212:213]              // 00000000902C: D3B140D4 1803A938
	v_pk_mul_f32 v[214:215], v[56:57], v[214:215]              // 000000009034: D3B140D6 1803AD38
	v_pk_mul_f32 v[220:221], v[56:57], v[220:221]              // 00000000903C: D3B140DC 1803B938
	v_pk_mul_f32 v[222:223], v[56:57], v[222:223]              // 000000009044: D3B140DE 1803BD38
	v_cmp_u_f32_e64 s[48:49], v192, v192                       // 00000000904C: D0480030 000381C0
	v_add3_u32 v52, v192, v55, 1                               // 000000009054: D1FF0034 02066FC0
	v_cndmask_b32_e64 v56, v52, v54, s[48:49]                  // 00000000905C: D1000038 00C26D34
	v_cmp_u_f32_e64 s[48:49], v193, v193                       // 000000009064: D0480030 000383C1
	v_add3_u32 v52, v193, v55, 1                               // 00000000906C: D1FF0034 02066FC1
	v_cndmask_b32_e64 v57, v52, v54, s[48:49]                  // 000000009074: D1000039 00C26D34
	v_perm_b32 v192, v57, v56, s52                             // 00000000907C: D1ED00C0 00D27139
	v_cmp_u_f32_e64 s[48:49], v194, v194                       // 000000009084: D0480030 000385C2
	v_add3_u32 v52, v194, v55, 1                               // 00000000908C: D1FF0034 02066FC2
	v_cndmask_b32_e64 v56, v52, v54, s[48:49]                  // 000000009094: D1000038 00C26D34
	v_cmp_u_f32_e64 s[48:49], v195, v195                       // 00000000909C: D0480030 000387C3
	v_add3_u32 v52, v195, v55, 1                               // 0000000090A4: D1FF0034 02066FC3
	v_cndmask_b32_e64 v57, v52, v54, s[48:49]                  // 0000000090AC: D1000039 00C26D34
	v_perm_b32 v193, v57, v56, s52                             // 0000000090B4: D1ED00C1 00D27139
	v_cmp_u_f32_e64 s[48:49], v196, v196                       // 0000000090BC: D0480030 000389C4
	v_add3_u32 v52, v196, v55, 1                               // 0000000090C4: D1FF0034 02066FC4
	v_cndmask_b32_e64 v56, v52, v54, s[48:49]                  // 0000000090CC: D1000038 00C26D34
	v_cmp_u_f32_e64 s[48:49], v197, v197                       // 0000000090D4: D0480030 00038BC5
	v_add3_u32 v52, v197, v55, 1                               // 0000000090DC: D1FF0034 02066FC5
	v_cndmask_b32_e64 v57, v52, v54, s[48:49]                  // 0000000090E4: D1000039 00C26D34
	v_perm_b32 v194, v57, v56, s52                             // 0000000090EC: D1ED00C2 00D27139
	v_cmp_u_f32_e64 s[48:49], v198, v198                       // 0000000090F4: D0480030 00038DC6
	v_add3_u32 v52, v198, v55, 1                               // 0000000090FC: D1FF0034 02066FC6
	v_cndmask_b32_e64 v56, v52, v54, s[48:49]                  // 000000009104: D1000038 00C26D34
	v_cmp_u_f32_e64 s[48:49], v199, v199                       // 00000000910C: D0480030 00038FC7
	v_add3_u32 v52, v199, v55, 1                               // 000000009114: D1FF0034 02066FC7
	v_cndmask_b32_e64 v57, v52, v54, s[48:49]                  // 00000000911C: D1000039 00C26D34
	v_perm_b32 v195, v57, v56, s52                             // 000000009124: D1ED00C3 00D27139
	v_cmp_u_f32_e64 s[48:49], v200, v200                       // 00000000912C: D0480030 000391C8
	v_add3_u32 v52, v200, v55, 1                               // 000000009134: D1FF0034 02066FC8
	v_cndmask_b32_e64 v56, v52, v54, s[48:49]                  // 00000000913C: D1000038 00C26D34
	v_cmp_u_f32_e64 s[48:49], v201, v201                       // 000000009144: D0480030 000393C9
	v_add3_u32 v52, v201, v55, 1                               // 00000000914C: D1FF0034 02066FC9
	v_cndmask_b32_e64 v57, v52, v54, s[48:49]                  // 000000009154: D1000039 00C26D34
	v_perm_b32 v196, v57, v56, s52                             // 00000000915C: D1ED00C4 00D27139
	v_cmp_u_f32_e64 s[48:49], v202, v202                       // 000000009164: D0480030 000395CA
	v_add3_u32 v52, v202, v55, 1                               // 00000000916C: D1FF0034 02066FCA
	v_cndmask_b32_e64 v56, v52, v54, s[48:49]                  // 000000009174: D1000038 00C26D34
	v_cmp_u_f32_e64 s[48:49], v203, v203                       // 00000000917C: D0480030 000397CB
	v_add3_u32 v52, v203, v55, 1                               // 000000009184: D1FF0034 02066FCB
	v_cndmask_b32_e64 v57, v52, v54, s[48:49]                  // 00000000918C: D1000039 00C26D34
	v_perm_b32 v197, v57, v56, s52                             // 000000009194: D1ED00C5 00D27139
	v_cmp_u_f32_e64 s[48:49], v204, v204                       // 00000000919C: D0480030 000399CC
	v_add3_u32 v52, v204, v55, 1                               // 0000000091A4: D1FF0034 02066FCC
	v_cndmask_b32_e64 v56, v52, v54, s[48:49]                  // 0000000091AC: D1000038 00C26D34
	v_cmp_u_f32_e64 s[48:49], v205, v205                       // 0000000091B4: D0480030 00039BCD
	v_add3_u32 v52, v205, v55, 1                               // 0000000091BC: D1FF0034 02066FCD
	v_cndmask_b32_e64 v57, v52, v54, s[48:49]                  // 0000000091C4: D1000039 00C26D34
	v_perm_b32 v198, v57, v56, s52                             // 0000000091CC: D1ED00C6 00D27139
	v_cmp_u_f32_e64 s[48:49], v206, v206                       // 0000000091D4: D0480030 00039DCE
	v_add3_u32 v52, v206, v55, 1                               // 0000000091DC: D1FF0034 02066FCE
	v_cndmask_b32_e64 v56, v52, v54, s[48:49]                  // 0000000091E4: D1000038 00C26D34
	v_cmp_u_f32_e64 s[48:49], v207, v207                       // 0000000091EC: D0480030 00039FCF
	v_add3_u32 v52, v207, v55, 1                               // 0000000091F4: D1FF0034 02066FCF
	v_cndmask_b32_e64 v57, v52, v54, s[48:49]                  // 0000000091FC: D1000039 00C26D34
	v_perm_b32 v199, v57, v56, s52                             // 000000009204: D1ED00C7 00D27139
	v_cmp_u_f32_e64 s[48:49], v208, v208                       // 00000000920C: D0480030 0003A1D0
	v_add3_u32 v52, v208, v55, 1                               // 000000009214: D1FF0034 02066FD0
	v_cndmask_b32_e64 v56, v52, v54, s[48:49]                  // 00000000921C: D1000038 00C26D34
	v_cmp_u_f32_e64 s[48:49], v209, v209                       // 000000009224: D0480030 0003A3D1
	v_add3_u32 v52, v209, v55, 1                               // 00000000922C: D1FF0034 02066FD1
	v_cndmask_b32_e64 v57, v52, v54, s[48:49]                  // 000000009234: D1000039 00C26D34
	v_perm_b32 v200, v57, v56, s52                             // 00000000923C: D1ED00C8 00D27139
	v_cmp_u_f32_e64 s[48:49], v210, v210                       // 000000009244: D0480030 0003A5D2
	v_add3_u32 v52, v210, v55, 1                               // 00000000924C: D1FF0034 02066FD2
	v_cndmask_b32_e64 v56, v52, v54, s[48:49]                  // 000000009254: D1000038 00C26D34
	v_cmp_u_f32_e64 s[48:49], v211, v211                       // 00000000925C: D0480030 0003A7D3
	v_add3_u32 v52, v211, v55, 1                               // 000000009264: D1FF0034 02066FD3
	v_cndmask_b32_e64 v57, v52, v54, s[48:49]                  // 00000000926C: D1000039 00C26D34
	v_perm_b32 v201, v57, v56, s52                             // 000000009274: D1ED00C9 00D27139
	v_cmp_u_f32_e64 s[48:49], v212, v212                       // 00000000927C: D0480030 0003A9D4
	v_add3_u32 v52, v212, v55, 1                               // 000000009284: D1FF0034 02066FD4
	v_cndmask_b32_e64 v56, v52, v54, s[48:49]                  // 00000000928C: D1000038 00C26D34
	v_cmp_u_f32_e64 s[48:49], v213, v213                       // 000000009294: D0480030 0003ABD5
	v_add3_u32 v52, v213, v55, 1                               // 00000000929C: D1FF0034 02066FD5
	v_cndmask_b32_e64 v57, v52, v54, s[48:49]                  // 0000000092A4: D1000039 00C26D34
	v_perm_b32 v202, v57, v56, s52                             // 0000000092AC: D1ED00CA 00D27139
	v_cmp_u_f32_e64 s[48:49], v214, v214                       // 0000000092B4: D0480030 0003ADD6
	v_add3_u32 v52, v214, v55, 1                               // 0000000092BC: D1FF0034 02066FD6
	v_cndmask_b32_e64 v56, v52, v54, s[48:49]                  // 0000000092C4: D1000038 00C26D34
	v_cmp_u_f32_e64 s[48:49], v215, v215                       // 0000000092CC: D0480030 0003AFD7
	v_add3_u32 v52, v215, v55, 1                               // 0000000092D4: D1FF0034 02066FD7
	v_cndmask_b32_e64 v57, v52, v54, s[48:49]                  // 0000000092DC: D1000039 00C26D34
	v_perm_b32 v203, v57, v56, s52                             // 0000000092E4: D1ED00CB 00D27139
	v_cmp_u_f32_e64 s[48:49], v216, v216                       // 0000000092EC: D0480030 0003B1D8
	v_add3_u32 v52, v216, v55, 1                               // 0000000092F4: D1FF0034 02066FD8
	v_cndmask_b32_e64 v56, v52, v54, s[48:49]                  // 0000000092FC: D1000038 00C26D34
	v_cmp_u_f32_e64 s[48:49], v217, v217                       // 000000009304: D0480030 0003B3D9
	v_add3_u32 v52, v217, v55, 1                               // 00000000930C: D1FF0034 02066FD9
	v_cndmask_b32_e64 v57, v52, v54, s[48:49]                  // 000000009314: D1000039 00C26D34
	v_perm_b32 v204, v57, v56, s52                             // 00000000931C: D1ED00CC 00D27139
	v_cmp_u_f32_e64 s[48:49], v218, v218                       // 000000009324: D0480030 0003B5DA
	v_add3_u32 v52, v218, v55, 1                               // 00000000932C: D1FF0034 02066FDA
	v_cndmask_b32_e64 v56, v52, v54, s[48:49]                  // 000000009334: D1000038 00C26D34
	v_cmp_u_f32_e64 s[48:49], v219, v219                       // 00000000933C: D0480030 0003B7DB
	v_add3_u32 v52, v219, v55, 1                               // 000000009344: D1FF0034 02066FDB
	v_cndmask_b32_e64 v57, v52, v54, s[48:49]                  // 00000000934C: D1000039 00C26D34
	v_perm_b32 v205, v57, v56, s52                             // 000000009354: D1ED00CD 00D27139
	v_cmp_u_f32_e64 s[48:49], v220, v220                       // 00000000935C: D0480030 0003B9DC
	v_add3_u32 v52, v220, v55, 1                               // 000000009364: D1FF0034 02066FDC
	v_cndmask_b32_e64 v56, v52, v54, s[48:49]                  // 00000000936C: D1000038 00C26D34
	v_cmp_u_f32_e64 s[48:49], v221, v221                       // 000000009374: D0480030 0003BBDD
	v_add3_u32 v52, v221, v55, 1                               // 00000000937C: D1FF0034 02066FDD
	v_cndmask_b32_e64 v57, v52, v54, s[48:49]                  // 000000009384: D1000039 00C26D34
	v_perm_b32 v206, v57, v56, s52                             // 00000000938C: D1ED00CE 00D27139
	v_cmp_u_f32_e64 s[48:49], v222, v222                       // 000000009394: D0480030 0003BDDE
	v_add3_u32 v52, v222, v55, 1                               // 00000000939C: D1FF0034 02066FDE
	v_cndmask_b32_e64 v56, v52, v54, s[48:49]                  // 0000000093A4: D1000038 00C26D34
	v_cmp_u_f32_e64 s[48:49], v223, v223                       // 0000000093AC: D0480030 0003BFDF
	v_add3_u32 v52, v223, v55, 1                               // 0000000093B4: D1FF0034 02066FDF
	v_cndmask_b32_e64 v57, v52, v54, s[48:49]                  // 0000000093BC: D1000039 00C26D34
	v_perm_b32 v207, v57, v56, s52                             // 0000000093C4: D1ED00CF 00D27139
	s_cmp_ge_u32 s80, 0x200                                    // 0000000093CC: BF09FF50 00000200
	s_cselect_b32 s59, 0x200, s59                              // 0000000093D4: 853B3BFF 00000200
	s_setvskip s20, 0                                          // 0000000093DC: BF108014
	global_atomic_pk_add_bf16 v80, v64, s[8:9]                 // 0000000093E0: DD488000 00084050
	s_setvskip 0, 0                                            // 0000000093E8: BF108080
	s_setvskip s20, 0                                          // 0000000093EC: BF108014
	global_atomic_pk_add_bf16 v80, v65, s[8:9] offset:256      // 0000000093F0: DD488100 00084150
	s_setvskip 0, 0                                            // 0000000093F8: BF108080
	s_setvskip s20, 1                                          // 0000000093FC: BF108114
	global_atomic_pk_add_bf16 v82, v66, s[8:9]                 // 000000009400: DD488000 00084252
	s_setvskip 0, 0                                            // 000000009408: BF108080
	s_setvskip s20, 1                                          // 00000000940C: BF108114
	global_atomic_pk_add_bf16 v82, v67, s[8:9] offset:256      // 000000009410: DD488100 00084352
	s_setvskip 0, 0                                            // 000000009418: BF108080
	s_setvskip s20, 2                                          // 00000000941C: BF108214
	global_atomic_pk_add_bf16 v84, v68, s[8:9]                 // 000000009420: DD488000 00084454
	s_setvskip 0, 0                                            // 000000009428: BF108080
	s_setvskip s20, 2                                          // 00000000942C: BF108214
	global_atomic_pk_add_bf16 v84, v69, s[8:9] offset:256      // 000000009430: DD488100 00084554
	s_setvskip 0, 0                                            // 000000009438: BF108080
	s_setvskip s20, 3                                          // 00000000943C: BF108314
	global_atomic_pk_add_bf16 v86, v70, s[8:9]                 // 000000009440: DD488000 00084656
	s_setvskip 0, 0                                            // 000000009448: BF108080
	s_setvskip s20, 3                                          // 00000000944C: BF108314
	global_atomic_pk_add_bf16 v86, v71, s[8:9] offset:256      // 000000009450: DD488100 00084756
	s_setvskip 0, 0                                            // 000000009458: BF108080
	s_setvskip s20, 4                                          // 00000000945C: BF108414
	global_atomic_pk_add_bf16 v88, v72, s[8:9]                 // 000000009460: DD488000 00084858
	s_setvskip 0, 0                                            // 000000009468: BF108080
	s_setvskip s20, 4                                          // 00000000946C: BF108414
	global_atomic_pk_add_bf16 v88, v73, s[8:9] offset:256      // 000000009470: DD488100 00084958
	s_setvskip 0, 0                                            // 000000009478: BF108080
	s_setvskip s20, 5                                          // 00000000947C: BF108514
	global_atomic_pk_add_bf16 v90, v74, s[8:9]                 // 000000009480: DD488000 00084A5A
	s_setvskip 0, 0                                            // 000000009488: BF108080
	s_setvskip s20, 5                                          // 00000000948C: BF108514
	global_atomic_pk_add_bf16 v90, v75, s[8:9] offset:256      // 000000009490: DD488100 00084B5A
	s_setvskip 0, 0                                            // 000000009498: BF108080
	s_setvskip s20, 6                                          // 00000000949C: BF108614
	global_atomic_pk_add_bf16 v92, v76, s[8:9]                 // 0000000094A0: DD488000 00084C5C
	s_setvskip 0, 0                                            // 0000000094A8: BF108080
	s_setvskip s20, 6                                          // 0000000094AC: BF108614
	global_atomic_pk_add_bf16 v92, v77, s[8:9] offset:256      // 0000000094B0: DD488100 00084D5C
	s_setvskip 0, 0                                            // 0000000094B8: BF108080
	s_setvskip s20, 7                                          // 0000000094BC: BF108714
	global_atomic_pk_add_bf16 v94, v78, s[8:9]                 // 0000000094C0: DD488000 00084E5E
	s_setvskip 0, 0                                            // 0000000094C8: BF108080
	s_setvskip s20, 7                                          // 0000000094CC: BF108714
	global_atomic_pk_add_bf16 v94, v79, s[8:9] offset:256      // 0000000094D0: DD488100 00084F5E
	s_setvskip 0, 0                                            // 0000000094D8: BF108080
	s_add_u32 s8, s59, s8                                      // 0000000094DC: 8008083B
	s_addc_u32 s9, 0, s9                                       // 0000000094E0: 82090980
	s_addk_i32 s80, 0x100                                      // 0000000094E4: B7500100
	s_cmp_lt_i32 s80, s81                                      // 0000000094E8: BF045150
	s_cbranch_scc0 label_0F9B                                  // 0000000094EC: BF84F5DF
	s_waitcnt vmcnt(12) lgkmcnt(0)                             // 0000000094F0: BF8C007C
	s_barrier                                                  // 0000000094F4: BF8A0000
	v_mfma_f32_16x16x32_fp8_fp8 v[224:227], a[64:65], v[128:129], 0// 0000000094F8: D3F300E0 0A030140
	buffer_load_dwordx4 a[0:3], v48, s[12:15], 0 offen         // 000000009500: E05C1000 80830030
	v_mfma_f32_16x16x32_fp8_fp8 v[224:227], a[66:67], v[130:131], v[224:227]// 000000009508: D3F300E0 0F830542
	ds_read_b32 v64, v5 offset:38144                           // 000000009510: D86C9500 40000005
	ds_read_b32 v65, v5 offset:42496                           // 000000009518: D86CA600 41000005
	v_mfma_f32_16x16x32_fp8_fp8 v[228:231], a[64:65], v[144:145], 0// 000000009520: D3F300E4 0A032140
	buffer_load_dword v23, v6, s[16:19], 0 offen               // 000000009528: E0501000 80041706
	v_mfma_f32_16x16x32_fp8_fp8 v[228:231], a[66:67], v[146:147], v[228:231]// 000000009530: D3F300E4 0F932542
	ds_read_b32 v66, v5 offset:38176                           // 000000009538: D86C9520 42000005
	ds_read_b32 v67, v5 offset:42528                           // 000000009540: D86CA620 43000005
	v_mfma_f32_16x16x32_fp8_fp8 v[232:235], a[68:69], v[128:129], 0// 000000009548: D3F300E8 0A030144
	buffer_load_dwordx4 a[4:7], v49, s[12:15], 0 offen         // 000000009550: E05C1000 80830431
	v_mfma_f32_16x16x32_fp8_fp8 v[232:235], a[70:71], v[130:131], v[232:235]// 000000009558: D3F300E8 0FA30546
	ds_read_b32 v68, v5 offset:38208                           // 000000009560: D86C9540 44000005
	ds_read_b32 v69, v5 offset:42560                           // 000000009568: D86CA640 45000005
	v_mfma_f32_16x16x32_fp8_fp8 v[236:239], a[68:69], v[144:145], 0// 000000009570: D3F300EC 0A032144
	v_mfma_f32_16x16x32_fp8_fp8 v[236:239], a[70:71], v[146:147], v[236:239]// 000000009578: D3F300EC 0FB32546
	ds_read_b32 v70, v5 offset:38240                           // 000000009580: D86C9560 46000005
	ds_read_b32 v71, v5 offset:42592                           // 000000009588: D86CA660 47000005
	v_mfma_f32_16x16x32_fp8_fp8 v[240:243], a[72:73], v[128:129], 0// 000000009590: D3F300F0 0A030148
	buffer_load_dwordx4 a[8:11], v50, s[12:15], 0 offen        // 000000009598: E05C1000 80830832
	v_mfma_f32_16x16x32_fp8_fp8 v[240:243], a[74:75], v[130:131], v[240:243]// 0000000095A0: D3F300F0 0FC3054A
	ds_read_b32 v72, v5 offset:46848                           // 0000000095A8: D86CB700 48000005
	ds_read_b32 v73, v5 offset:51200                           // 0000000095B0: D86CC800 49000005
	v_mfma_f32_16x16x32_fp8_fp8 v[244:247], a[72:73], v[144:145], 0// 0000000095B8: D3F300F4 0A032148
	v_mfma_f32_16x16x32_fp8_fp8 v[244:247], a[74:75], v[146:147], v[244:247]// 0000000095C0: D3F300F4 0FD3254A
	ds_read_b32 v74, v5 offset:46880                           // 0000000095C8: D86CB720 4A000005
	ds_read_b32 v75, v5 offset:51232                           // 0000000095D0: D86CC820 4B000005
	v_mfma_f32_16x16x32_fp8_fp8 v[248:251], a[76:77], v[128:129], 0// 0000000095D8: D3F300F8 0A03014C
	buffer_load_dwordx4 a[12:15], v51, s[12:15], 0 offen       // 0000000095E0: E05C1000 80830C33
	s_add_u32 s12, s78, s12                                    // 0000000095E8: 800C0C4E
	s_addc_u32 s13, 0, s13                                     // 0000000095EC: 820D0D80
	v_mfma_f32_16x16x32_fp8_fp8 v[248:251], a[78:79], v[130:131], v[248:251]// 0000000095F0: D3F300F8 0FE3054E
	ds_read_b32 v76, v5 offset:46912                           // 0000000095F8: D86CB740 4C000005
	ds_read_b32 v77, v5 offset:51264                           // 000000009600: D86CC840 4D000005
	v_mfma_f32_16x16x32_fp8_fp8 v[252:255], a[76:77], v[144:145], 0// 000000009608: D3F300FC 0A03214C
	v_mfma_f32_16x16x32_fp8_fp8 v[252:255], a[78:79], v[146:147], v[252:255]// 000000009610: D3F300FC 0FF3254E
	ds_read_b32 v78, v5 offset:46944                           // 000000009618: D86CB760 4E000005
	ds_read_b32 v79, v5 offset:51296                           // 000000009620: D86CC860 4F000005
	s_waitcnt vmcnt(13)                                        // 000000009628: BF8C0F7D
	v_mfma_f32_16x16x32_fp8_fp8 v[224:227], a[80:81], v[132:133], v[224:227]// 00000000962C: D3F300E0 0F830950
	buffer_load_dwordx4 a[16:19], v48, s[12:15], 0 offen       // 000000009634: E05C1000 80831030
	v_mfma_f32_16x16x32_fp8_fp8 v[224:227], a[82:83], v[134:135], v[224:227]// 00000000963C: D3F300E0 0F830D52
	v_mfma_f32_16x16x32_fp8_fp8 v[228:231], a[80:81], v[148:149], v[228:231]// 000000009644: D3F300E4 0F932950
	v_mfma_f32_16x16x32_fp8_fp8 v[228:231], a[82:83], v[150:151], v[228:231]// 00000000964C: D3F300E4 0F932D52
	v_mfma_f32_16x16x32_fp8_fp8 v[232:235], a[84:85], v[132:133], v[232:235]// 000000009654: D3F300E8 0FA30954
	buffer_load_dwordx4 a[20:23], v49, s[12:15], 0 offen       // 00000000965C: E05C1000 80831431
	v_mfma_f32_16x16x32_fp8_fp8 v[232:235], a[86:87], v[134:135], v[232:235]// 000000009664: D3F300E8 0FA30D56
	v_mfma_f32_16x16x32_fp8_fp8 v[236:239], a[84:85], v[148:149], v[236:239]// 00000000966C: D3F300EC 0FB32954
	v_mfma_f32_16x16x32_fp8_fp8 v[236:239], a[86:87], v[150:151], v[236:239]// 000000009674: D3F300EC 0FB32D56
	v_mfma_f32_16x16x32_fp8_fp8 v[240:243], a[88:89], v[132:133], v[240:243]// 00000000967C: D3F300F0 0FC30958
	buffer_load_dwordx4 a[24:27], v50, s[12:15], 0 offen       // 000000009684: E05C1000 80831832
	v_mfma_f32_16x16x32_fp8_fp8 v[240:243], a[90:91], v[134:135], v[240:243]// 00000000968C: D3F300F0 0FC30D5A
	v_mfma_f32_16x16x32_fp8_fp8 v[244:247], a[88:89], v[148:149], v[244:247]// 000000009694: D3F300F4 0FD32958
	v_mfma_f32_16x16x32_fp8_fp8 v[244:247], a[90:91], v[150:151], v[244:247]// 00000000969C: D3F300F4 0FD32D5A
	v_mfma_f32_16x16x32_fp8_fp8 v[248:251], a[92:93], v[132:133], v[248:251]// 0000000096A4: D3F300F8 0FE3095C
	buffer_load_dwordx4 a[28:31], v51, s[12:15], 0 offen       // 0000000096AC: E05C1000 80831C33
	s_add_u32 s12, s78, s12                                    // 0000000096B4: 800C0C4E
	s_addc_u32 s13, 0, s13                                     // 0000000096B8: 820D0D80
	v_mfma_f32_16x16x32_fp8_fp8 v[248:251], a[94:95], v[134:135], v[248:251]// 0000000096BC: D3F300F8 0FE30D5E
	v_mfma_f32_16x16x32_fp8_fp8 v[252:255], a[92:93], v[148:149], v[252:255]// 0000000096C4: D3F300FC 0FF3295C
	v_mfma_f32_16x16x32_fp8_fp8 v[252:255], a[94:95], v[150:151], v[252:255]// 0000000096CC: D3F300FC 0FF32D5E
	v_mul_f32_dpp v56, v24, v32 row_newbcast:0 row_mask:0xf bank_mask:0xf// 0000000096D4: 0A7040FA FF015018
	v_mov_b32_e32 v57, v56                                     // 0000000096DC: 7E720338
	v_pk_mul_f32 v[224:225], v[56:57], v[224:225]              // 0000000096E0: D3B140E0 1803C138
	v_pk_mul_f32 v[226:227], v[56:57], v[226:227]              // 0000000096E8: D3B140E2 1803C538
	v_pk_mul_f32 v[232:233], v[56:57], v[232:233]              // 0000000096F0: D3B140E8 1803D138
	v_pk_mul_f32 v[234:235], v[56:57], v[234:235]              // 0000000096F8: D3B140EA 1803D538
	v_mul_f32_dpp v56, v24, v32 row_newbcast:1 row_mask:0xf bank_mask:0xf// 000000009700: 0A7040FA FF015118
	v_mov_b32_e32 v57, v56                                     // 000000009708: 7E720338
	v_pk_mul_f32 v[240:241], v[56:57], v[240:241]              // 00000000970C: D3B140F0 1803E138
	v_pk_mul_f32 v[242:243], v[56:57], v[242:243]              // 000000009714: D3B140F2 1803E538
	v_pk_mul_f32 v[248:249], v[56:57], v[248:249]              // 00000000971C: D3B140F8 1803F138
	v_pk_mul_f32 v[250:251], v[56:57], v[250:251]              // 000000009724: D3B140FA 1803F538
	v_mul_f32_dpp v56, v24, v33 row_newbcast:0 row_mask:0xf bank_mask:0xf// 00000000972C: 0A7042FA FF015018
	v_mov_b32_e32 v57, v56                                     // 000000009734: 7E720338
	v_pk_mul_f32 v[228:229], v[56:57], v[228:229]              // 000000009738: D3B140E4 1803C938
	v_pk_mul_f32 v[230:231], v[56:57], v[230:231]              // 000000009740: D3B140E6 1803CD38
	v_pk_mul_f32 v[236:237], v[56:57], v[236:237]              // 000000009748: D3B140EC 1803D938
	v_pk_mul_f32 v[238:239], v[56:57], v[238:239]              // 000000009750: D3B140EE 1803DD38
	v_mul_f32_dpp v56, v24, v33 row_newbcast:1 row_mask:0xf bank_mask:0xf// 000000009758: 0A7042FA FF015118
	v_mov_b32_e32 v57, v56                                     // 000000009760: 7E720338
	v_pk_mul_f32 v[244:245], v[56:57], v[244:245]              // 000000009764: D3B140F4 1803E938
	v_pk_mul_f32 v[246:247], v[56:57], v[246:247]              // 00000000976C: D3B140F6 1803ED38
	v_pk_mul_f32 v[252:253], v[56:57], v[252:253]              // 000000009774: D3B140FC 1803F938
	v_pk_mul_f32 v[254:255], v[56:57], v[254:255]              // 00000000977C: D3B140FE 1803FD38
	s_waitcnt vmcnt(13)                                        // 000000009784: BF8C0F7D
	v_mfma_f32_16x16x32_fp8_fp8 v[160:163], a[96:97], v[136:137], 0// 000000009788: D3F300A0 0A031160
	buffer_load_dwordx4 a[32:35], v48, s[12:15], 0 offen       // 000000009790: E05C1000 80832030
	v_mfma_f32_16x16x32_fp8_fp8 v[160:163], a[98:99], v[138:139], v[160:163]// 000000009798: D3F300A0 0E831562
	ds_write_b64 v4, v[192:193] offset:20736                   // 0000000097A0: D89A5100 0000C004
	v_mfma_f32_16x16x32_fp8_fp8 v[164:167], a[96:97], v[152:153], 0// 0000000097A8: D3F300A4 0A033160
	v_mfma_f32_16x16x32_fp8_fp8 v[164:167], a[98:99], v[154:155], v[164:167]// 0000000097B0: D3F300A4 0E933562
	ds_write_b64 v4, v[194:195] offset:29440                   // 0000000097B8: D89A7300 0000C204
	v_mfma_f32_16x16x32_fp8_fp8 v[168:171], a[100:101], v[136:137], 0// 0000000097C0: D3F300A8 0A031164
	buffer_load_dwordx4 a[36:39], v49, s[12:15], 0 offen       // 0000000097C8: E05C1000 80832431
	v_mfma_f32_16x16x32_fp8_fp8 v[168:171], a[102:103], v[138:139], v[168:171]// 0000000097D0: D3F300A8 0EA31566
	ds_write_b64 v4, v[196:197] offset:22912                   // 0000000097D8: D89A5980 0000C404
	v_mfma_f32_16x16x32_fp8_fp8 v[172:175], a[100:101], v[152:153], 0// 0000000097E0: D3F300AC 0A033164
	v_mfma_f32_16x16x32_fp8_fp8 v[172:175], a[102:103], v[154:155], v[172:175]// 0000000097E8: D3F300AC 0EB33566
	ds_write_b64 v4, v[198:199] offset:31616                   // 0000000097F0: D89A7B80 0000C604
	v_mfma_f32_16x16x32_fp8_fp8 v[176:179], a[104:105], v[136:137], 0// 0000000097F8: D3F300B0 0A031168
	buffer_load_dwordx4 a[40:43], v50, s[12:15], 0 offen       // 000000009800: E05C1000 80832832
	v_mfma_f32_16x16x32_fp8_fp8 v[176:179], a[106:107], v[138:139], v[176:179]// 000000009808: D3F300B0 0EC3156A
	ds_write_b64 v4, v[200:201] offset:25088                   // 000000009810: D89A6200 0000C804
	v_mfma_f32_16x16x32_fp8_fp8 v[180:183], a[104:105], v[152:153], 0// 000000009818: D3F300B4 0A033168
	v_mfma_f32_16x16x32_fp8_fp8 v[180:183], a[106:107], v[154:155], v[180:183]// 000000009820: D3F300B4 0ED3356A
	ds_write_b64 v4, v[202:203] offset:33792                   // 000000009828: D89A8400 0000CA04
	v_mfma_f32_16x16x32_fp8_fp8 v[184:187], a[108:109], v[136:137], 0// 000000009830: D3F300B8 0A03116C
	buffer_load_dwordx4 a[44:47], v51, s[12:15], 0 offen       // 000000009838: E05C1000 80832C33
	s_add_u32 s12, s78, s12                                    // 000000009840: 800C0C4E
	s_addc_u32 s13, 0, s13                                     // 000000009844: 820D0D80
	v_mfma_f32_16x16x32_fp8_fp8 v[184:187], a[110:111], v[138:139], v[184:187]// 000000009848: D3F300B8 0EE3156E
	ds_write_b64 v4, v[204:205] offset:27264                   // 000000009850: D89A6A80 0000CC04
	v_mfma_f32_16x16x32_fp8_fp8 v[188:191], a[108:109], v[152:153], 0// 000000009858: D3F300BC 0A03316C
	v_mfma_f32_16x16x32_fp8_fp8 v[188:191], a[110:111], v[154:155], v[188:191]// 000000009860: D3F300BC 0EF3356E
	ds_write_b64 v4, v[206:207] offset:35968                   // 000000009868: D89A8C80 0000CE04
	s_waitcnt vmcnt(13)                                        // 000000009870: BF8C0F7D
	v_mfma_f32_16x16x32_fp8_fp8 v[160:163], a[112:113], v[140:141], v[160:163]// 000000009874: D3F300A0 0E831970
	buffer_load_dwordx4 a[48:51], v48, s[12:15], 0 offen       // 00000000987C: E05C1000 80833030
	v_mfma_f32_16x16x32_fp8_fp8 v[160:163], a[114:115], v[142:143], v[160:163]// 000000009884: D3F300A0 0E831D72
	v_mfma_f32_16x16x32_fp8_fp8 v[164:167], a[112:113], v[156:157], v[164:167]// 00000000988C: D3F300A4 0E933970
	v_mfma_f32_16x16x32_fp8_fp8 v[164:167], a[114:115], v[158:159], v[164:167]// 000000009894: D3F300A4 0E933D72
	v_mfma_f32_16x16x32_fp8_fp8 v[168:171], a[116:117], v[140:141], v[168:171]// 00000000989C: D3F300A8 0EA31974
	buffer_load_dwordx4 a[52:55], v49, s[12:15], 0 offen       // 0000000098A4: E05C1000 80833431
	v_mfma_f32_16x16x32_fp8_fp8 v[168:171], a[118:119], v[142:143], v[168:171]// 0000000098AC: D3F300A8 0EA31D76
	v_mfma_f32_16x16x32_fp8_fp8 v[172:175], a[116:117], v[156:157], v[172:175]// 0000000098B4: D3F300AC 0EB33974
	v_mfma_f32_16x16x32_fp8_fp8 v[172:175], a[118:119], v[158:159], v[172:175]// 0000000098BC: D3F300AC 0EB33D76
	v_mfma_f32_16x16x32_fp8_fp8 v[176:179], a[120:121], v[140:141], v[176:179]// 0000000098C4: D3F300B0 0EC31978
	buffer_load_dwordx4 a[56:59], v50, s[12:15], 0 offen       // 0000000098CC: E05C1000 80833832
	v_mfma_f32_16x16x32_fp8_fp8 v[176:179], a[122:123], v[142:143], v[176:179]// 0000000098D4: D3F300B0 0EC31D7A
	v_mfma_f32_16x16x32_fp8_fp8 v[180:183], a[120:121], v[156:157], v[180:183]// 0000000098DC: D3F300B4 0ED33978
	v_mfma_f32_16x16x32_fp8_fp8 v[180:183], a[122:123], v[158:159], v[180:183]// 0000000098E4: D3F300B4 0ED33D7A
	v_mfma_f32_16x16x32_fp8_fp8 v[184:187], a[124:125], v[140:141], v[184:187]// 0000000098EC: D3F300B8 0EE3197C
	buffer_load_dwordx4 a[60:63], v51, s[12:15], 0 offen       // 0000000098F4: E05C1000 80833C33
	v_mfma_f32_16x16x32_fp8_fp8 v[184:187], a[126:127], v[142:143], v[184:187]// 0000000098FC: D3F300B8 0EE31D7E
	v_mfma_f32_16x16x32_fp8_fp8 v[188:191], a[124:125], v[156:157], v[188:191]// 000000009904: D3F300BC 0EF3397C
	v_mfma_f32_16x16x32_fp8_fp8 v[188:191], a[126:127], v[158:159], v[188:191]// 00000000990C: D3F300BC 0EF33D7E
	v_mul_f32_dpp v56, v24, v34 row_newbcast:2 row_mask:0xf bank_mask:0xf// 000000009914: 0A7044FA FF015218
	v_mov_b32_e32 v57, v56                                     // 00000000991C: 7E720338
	v_pk_fma_f32 v[224:225], v[160:161], v[56:57], v[224:225]  // 000000009920: D3B040E0 1F8271A0
	v_pk_fma_f32 v[226:227], v[162:163], v[56:57], v[226:227]  // 000000009928: D3B040E2 1F8A71A2
	v_pk_fma_f32 v[232:233], v[168:169], v[56:57], v[232:233]  // 000000009930: D3B040E8 1FA271A8
	v_pk_fma_f32 v[234:235], v[170:171], v[56:57], v[234:235]  // 000000009938: D3B040EA 1FAA71AA
	v_mul_f32_dpp v56, v24, v34 row_newbcast:3 row_mask:0xf bank_mask:0xf// 000000009940: 0A7044FA FF015318
	v_mov_b32_e32 v57, v56                                     // 000000009948: 7E720338
	v_pk_fma_f32 v[240:241], v[176:177], v[56:57], v[240:241]  // 00000000994C: D3B040F0 1FC271B0
	v_pk_fma_f32 v[242:243], v[178:179], v[56:57], v[242:243]  // 000000009954: D3B040F2 1FCA71B2
	v_pk_fma_f32 v[248:249], v[184:185], v[56:57], v[248:249]  // 00000000995C: D3B040F8 1FE271B8
	v_pk_fma_f32 v[250:251], v[186:187], v[56:57], v[250:251]  // 000000009964: D3B040FA 1FEA71BA
	v_mul_f32_dpp v56, v24, v35 row_newbcast:2 row_mask:0xf bank_mask:0xf// 00000000996C: 0A7046FA FF015218
	v_mov_b32_e32 v57, v56                                     // 000000009974: 7E720338
	v_pk_fma_f32 v[228:229], v[164:165], v[56:57], v[228:229]  // 000000009978: D3B040E4 1F9271A4
	v_pk_fma_f32 v[230:231], v[166:167], v[56:57], v[230:231]  // 000000009980: D3B040E6 1F9A71A6
	v_pk_fma_f32 v[236:237], v[172:173], v[56:57], v[236:237]  // 000000009988: D3B040EC 1FB271AC
	v_pk_fma_f32 v[238:239], v[174:175], v[56:57], v[238:239]  // 000000009990: D3B040EE 1FBA71AE
	v_mul_f32_dpp v56, v24, v35 row_newbcast:3 row_mask:0xf bank_mask:0xf// 000000009998: 0A7046FA FF015318
	v_mov_b32_e32 v57, v56                                     // 0000000099A0: 7E720338
	v_pk_fma_f32 v[244:245], v[180:181], v[56:57], v[244:245]  // 0000000099A4: D3B040F4 1FD271B4
	v_pk_fma_f32 v[246:247], v[182:183], v[56:57], v[246:247]  // 0000000099AC: D3B040F6 1FDA71B6
	v_pk_fma_f32 v[252:253], v[188:189], v[56:57], v[252:253]  // 0000000099B4: D3B040FC 1FF271BC
	v_pk_fma_f32 v[254:255], v[190:191], v[56:57], v[254:255]  // 0000000099BC: D3B040FE 1FFA71BE
	s_add_u32 s60, 0x200, s80                                  // 0000000099C4: 803C50FF 00000200
	s_cmp_lt_u32 s60, s81                                      // 0000000099CC: BF0A513C
	s_cselect_b32 s56, s56, 0                                  // 0000000099D0: 85388038
	s_cselect_b32 s78, s78, 0                                  // 0000000099D4: 854E804E
	s_cselect_b32 s79, s79, 0                                  // 0000000099D8: 854F804F
	s_add_u32 s12, s56, s12                                    // 0000000099DC: 800C0C38
	s_addc_u32 s13, 0, s13                                     // 0000000099E0: 820D0D80
	s_add_u32 s16, s79, s16                                    // 0000000099E4: 8010104F
	s_addc_u32 s17, 0, s17                                     // 0000000099E8: 82111180
	v_mov_b32_e32 v56, v25                                     // 0000000099EC: 7E700319
	v_mov_b32_e32 v57, v25                                     // 0000000099F0: 7E720319
	v_pk_mul_f32 v[224:225], v[56:57], v[224:225]              // 0000000099F4: D3B140E0 1803C138
	v_pk_mul_f32 v[226:227], v[56:57], v[226:227]              // 0000000099FC: D3B140E2 1803C538
	v_pk_mul_f32 v[232:233], v[56:57], v[232:233]              // 000000009A04: D3B140E8 1803D138
	v_pk_mul_f32 v[234:235], v[56:57], v[234:235]              // 000000009A0C: D3B140EA 1803D538
	v_pk_mul_f32 v[240:241], v[56:57], v[240:241]              // 000000009A14: D3B140F0 1803E138
	v_pk_mul_f32 v[242:243], v[56:57], v[242:243]              // 000000009A1C: D3B140F2 1803E538
	v_pk_mul_f32 v[248:249], v[56:57], v[248:249]              // 000000009A24: D3B140F8 1803F138
	v_pk_mul_f32 v[250:251], v[56:57], v[250:251]              // 000000009A2C: D3B140FA 1803F538
	v_mov_b32_e32 v56, v26                                     // 000000009A34: 7E70031A
	v_mov_b32_e32 v57, v26                                     // 000000009A38: 7E72031A
	v_pk_mul_f32 v[228:229], v[56:57], v[228:229]              // 000000009A3C: D3B140E4 1803C938
	v_pk_mul_f32 v[230:231], v[56:57], v[230:231]              // 000000009A44: D3B140E6 1803CD38
	v_pk_mul_f32 v[236:237], v[56:57], v[236:237]              // 000000009A4C: D3B140EC 1803D938
	v_pk_mul_f32 v[238:239], v[56:57], v[238:239]              // 000000009A54: D3B140EE 1803DD38
	v_pk_mul_f32 v[244:245], v[56:57], v[244:245]              // 000000009A5C: D3B140F4 1803E938
	v_pk_mul_f32 v[246:247], v[56:57], v[246:247]              // 000000009A64: D3B140F6 1803ED38
	v_pk_mul_f32 v[252:253], v[56:57], v[252:253]              // 000000009A6C: D3B140FC 1803F938
	v_pk_mul_f32 v[254:255], v[56:57], v[254:255]              // 000000009A74: D3B140FE 1803FD38
	v_cmp_u_f32_e64 s[48:49], v224, v224                       // 000000009A7C: D0480030 0003C1E0
	v_add3_u32 v52, v224, v55, 1                               // 000000009A84: D1FF0034 02066FE0
	v_cndmask_b32_e64 v56, v52, v54, s[48:49]                  // 000000009A8C: D1000038 00C26D34
	v_cmp_u_f32_e64 s[48:49], v225, v225                       // 000000009A94: D0480030 0003C3E1
	v_add3_u32 v52, v225, v55, 1                               // 000000009A9C: D1FF0034 02066FE1
	v_cndmask_b32_e64 v57, v52, v54, s[48:49]                  // 000000009AA4: D1000039 00C26D34
	v_perm_b32 v224, v57, v56, s52                             // 000000009AAC: D1ED00E0 00D27139
	v_cmp_u_f32_e64 s[48:49], v226, v226                       // 000000009AB4: D0480030 0003C5E2
	v_add3_u32 v52, v226, v55, 1                               // 000000009ABC: D1FF0034 02066FE2
	v_cndmask_b32_e64 v56, v52, v54, s[48:49]                  // 000000009AC4: D1000038 00C26D34
	v_cmp_u_f32_e64 s[48:49], v227, v227                       // 000000009ACC: D0480030 0003C7E3
	v_add3_u32 v52, v227, v55, 1                               // 000000009AD4: D1FF0034 02066FE3
	v_cndmask_b32_e64 v57, v52, v54, s[48:49]                  // 000000009ADC: D1000039 00C26D34
	v_perm_b32 v225, v57, v56, s52                             // 000000009AE4: D1ED00E1 00D27139
	v_cmp_u_f32_e64 s[48:49], v228, v228                       // 000000009AEC: D0480030 0003C9E4
	v_add3_u32 v52, v228, v55, 1                               // 000000009AF4: D1FF0034 02066FE4
	v_cndmask_b32_e64 v56, v52, v54, s[48:49]                  // 000000009AFC: D1000038 00C26D34
	v_cmp_u_f32_e64 s[48:49], v229, v229                       // 000000009B04: D0480030 0003CBE5
	v_add3_u32 v52, v229, v55, 1                               // 000000009B0C: D1FF0034 02066FE5
	v_cndmask_b32_e64 v57, v52, v54, s[48:49]                  // 000000009B14: D1000039 00C26D34
	v_perm_b32 v226, v57, v56, s52                             // 000000009B1C: D1ED00E2 00D27139
	v_cmp_u_f32_e64 s[48:49], v230, v230                       // 000000009B24: D0480030 0003CDE6
	v_add3_u32 v52, v230, v55, 1                               // 000000009B2C: D1FF0034 02066FE6
	v_cndmask_b32_e64 v56, v52, v54, s[48:49]                  // 000000009B34: D1000038 00C26D34
	v_cmp_u_f32_e64 s[48:49], v231, v231                       // 000000009B3C: D0480030 0003CFE7
	v_add3_u32 v52, v231, v55, 1                               // 000000009B44: D1FF0034 02066FE7
	v_cndmask_b32_e64 v57, v52, v54, s[48:49]                  // 000000009B4C: D1000039 00C26D34
	v_perm_b32 v227, v57, v56, s52                             // 000000009B54: D1ED00E3 00D27139
	v_cmp_u_f32_e64 s[48:49], v232, v232                       // 000000009B5C: D0480030 0003D1E8
	v_add3_u32 v52, v232, v55, 1                               // 000000009B64: D1FF0034 02066FE8
	v_cndmask_b32_e64 v56, v52, v54, s[48:49]                  // 000000009B6C: D1000038 00C26D34
	v_cmp_u_f32_e64 s[48:49], v233, v233                       // 000000009B74: D0480030 0003D3E9
	v_add3_u32 v52, v233, v55, 1                               // 000000009B7C: D1FF0034 02066FE9
	v_cndmask_b32_e64 v57, v52, v54, s[48:49]                  // 000000009B84: D1000039 00C26D34
	v_perm_b32 v228, v57, v56, s52                             // 000000009B8C: D1ED00E4 00D27139
	v_cmp_u_f32_e64 s[48:49], v234, v234                       // 000000009B94: D0480030 0003D5EA
	v_add3_u32 v52, v234, v55, 1                               // 000000009B9C: D1FF0034 02066FEA
	v_cndmask_b32_e64 v56, v52, v54, s[48:49]                  // 000000009BA4: D1000038 00C26D34
	v_cmp_u_f32_e64 s[48:49], v235, v235                       // 000000009BAC: D0480030 0003D7EB
	v_add3_u32 v52, v235, v55, 1                               // 000000009BB4: D1FF0034 02066FEB
	v_cndmask_b32_e64 v57, v52, v54, s[48:49]                  // 000000009BBC: D1000039 00C26D34
	v_perm_b32 v229, v57, v56, s52                             // 000000009BC4: D1ED00E5 00D27139
	v_cmp_u_f32_e64 s[48:49], v236, v236                       // 000000009BCC: D0480030 0003D9EC
	v_add3_u32 v52, v236, v55, 1                               // 000000009BD4: D1FF0034 02066FEC
	v_cndmask_b32_e64 v56, v52, v54, s[48:49]                  // 000000009BDC: D1000038 00C26D34
	v_cmp_u_f32_e64 s[48:49], v237, v237                       // 000000009BE4: D0480030 0003DBED
	v_add3_u32 v52, v237, v55, 1                               // 000000009BEC: D1FF0034 02066FED
	v_cndmask_b32_e64 v57, v52, v54, s[48:49]                  // 000000009BF4: D1000039 00C26D34
	v_perm_b32 v230, v57, v56, s52                             // 000000009BFC: D1ED00E6 00D27139
	v_cmp_u_f32_e64 s[48:49], v238, v238                       // 000000009C04: D0480030 0003DDEE
	v_add3_u32 v52, v238, v55, 1                               // 000000009C0C: D1FF0034 02066FEE
	v_cndmask_b32_e64 v56, v52, v54, s[48:49]                  // 000000009C14: D1000038 00C26D34
	v_cmp_u_f32_e64 s[48:49], v239, v239                       // 000000009C1C: D0480030 0003DFEF
	v_add3_u32 v52, v239, v55, 1                               // 000000009C24: D1FF0034 02066FEF
	v_cndmask_b32_e64 v57, v52, v54, s[48:49]                  // 000000009C2C: D1000039 00C26D34
	v_perm_b32 v231, v57, v56, s52                             // 000000009C34: D1ED00E7 00D27139
	v_cmp_u_f32_e64 s[48:49], v240, v240                       // 000000009C3C: D0480030 0003E1F0
	v_add3_u32 v52, v240, v55, 1                               // 000000009C44: D1FF0034 02066FF0
	v_cndmask_b32_e64 v56, v52, v54, s[48:49]                  // 000000009C4C: D1000038 00C26D34
	v_cmp_u_f32_e64 s[48:49], v241, v241                       // 000000009C54: D0480030 0003E3F1
	v_add3_u32 v52, v241, v55, 1                               // 000000009C5C: D1FF0034 02066FF1
	v_cndmask_b32_e64 v57, v52, v54, s[48:49]                  // 000000009C64: D1000039 00C26D34
	v_perm_b32 v232, v57, v56, s52                             // 000000009C6C: D1ED00E8 00D27139
	v_cmp_u_f32_e64 s[48:49], v242, v242                       // 000000009C74: D0480030 0003E5F2
	v_add3_u32 v52, v242, v55, 1                               // 000000009C7C: D1FF0034 02066FF2
	v_cndmask_b32_e64 v56, v52, v54, s[48:49]                  // 000000009C84: D1000038 00C26D34
	v_cmp_u_f32_e64 s[48:49], v243, v243                       // 000000009C8C: D0480030 0003E7F3
	v_add3_u32 v52, v243, v55, 1                               // 000000009C94: D1FF0034 02066FF3
	v_cndmask_b32_e64 v57, v52, v54, s[48:49]                  // 000000009C9C: D1000039 00C26D34
	v_perm_b32 v233, v57, v56, s52                             // 000000009CA4: D1ED00E9 00D27139
	v_cmp_u_f32_e64 s[48:49], v244, v244                       // 000000009CAC: D0480030 0003E9F4
	v_add3_u32 v52, v244, v55, 1                               // 000000009CB4: D1FF0034 02066FF4
	v_cndmask_b32_e64 v56, v52, v54, s[48:49]                  // 000000009CBC: D1000038 00C26D34
	v_cmp_u_f32_e64 s[48:49], v245, v245                       // 000000009CC4: D0480030 0003EBF5
	v_add3_u32 v52, v245, v55, 1                               // 000000009CCC: D1FF0034 02066FF5
	v_cndmask_b32_e64 v57, v52, v54, s[48:49]                  // 000000009CD4: D1000039 00C26D34
	v_perm_b32 v234, v57, v56, s52                             // 000000009CDC: D1ED00EA 00D27139
	v_cmp_u_f32_e64 s[48:49], v246, v246                       // 000000009CE4: D0480030 0003EDF6
	v_add3_u32 v52, v246, v55, 1                               // 000000009CEC: D1FF0034 02066FF6
	v_cndmask_b32_e64 v56, v52, v54, s[48:49]                  // 000000009CF4: D1000038 00C26D34
	v_cmp_u_f32_e64 s[48:49], v247, v247                       // 000000009CFC: D0480030 0003EFF7
	v_add3_u32 v52, v247, v55, 1                               // 000000009D04: D1FF0034 02066FF7
	v_cndmask_b32_e64 v57, v52, v54, s[48:49]                  // 000000009D0C: D1000039 00C26D34
	v_perm_b32 v235, v57, v56, s52                             // 000000009D14: D1ED00EB 00D27139
	v_cmp_u_f32_e64 s[48:49], v248, v248                       // 000000009D1C: D0480030 0003F1F8
	v_add3_u32 v52, v248, v55, 1                               // 000000009D24: D1FF0034 02066FF8
	v_cndmask_b32_e64 v56, v52, v54, s[48:49]                  // 000000009D2C: D1000038 00C26D34
	v_cmp_u_f32_e64 s[48:49], v249, v249                       // 000000009D34: D0480030 0003F3F9
	v_add3_u32 v52, v249, v55, 1                               // 000000009D3C: D1FF0034 02066FF9
	v_cndmask_b32_e64 v57, v52, v54, s[48:49]                  // 000000009D44: D1000039 00C26D34
	v_perm_b32 v236, v57, v56, s52                             // 000000009D4C: D1ED00EC 00D27139
	v_cmp_u_f32_e64 s[48:49], v250, v250                       // 000000009D54: D0480030 0003F5FA
	v_add3_u32 v52, v250, v55, 1                               // 000000009D5C: D1FF0034 02066FFA
	v_cndmask_b32_e64 v56, v52, v54, s[48:49]                  // 000000009D64: D1000038 00C26D34
	v_cmp_u_f32_e64 s[48:49], v251, v251                       // 000000009D6C: D0480030 0003F7FB
	v_add3_u32 v52, v251, v55, 1                               // 000000009D74: D1FF0034 02066FFB
	v_cndmask_b32_e64 v57, v52, v54, s[48:49]                  // 000000009D7C: D1000039 00C26D34
	v_perm_b32 v237, v57, v56, s52                             // 000000009D84: D1ED00ED 00D27139
	v_cmp_u_f32_e64 s[48:49], v252, v252                       // 000000009D8C: D0480030 0003F9FC
	v_add3_u32 v52, v252, v55, 1                               // 000000009D94: D1FF0034 02066FFC
	v_cndmask_b32_e64 v56, v52, v54, s[48:49]                  // 000000009D9C: D1000038 00C26D34
	v_cmp_u_f32_e64 s[48:49], v253, v253                       // 000000009DA4: D0480030 0003FBFD
	v_add3_u32 v52, v253, v55, 1                               // 000000009DAC: D1FF0034 02066FFD
	v_cndmask_b32_e64 v57, v52, v54, s[48:49]                  // 000000009DB4: D1000039 00C26D34
	v_perm_b32 v238, v57, v56, s52                             // 000000009DBC: D1ED00EE 00D27139
	v_cmp_u_f32_e64 s[48:49], v254, v254                       // 000000009DC4: D0480030 0003FDFE
	v_add3_u32 v52, v254, v55, 1                               // 000000009DCC: D1FF0034 02066FFE
	v_cndmask_b32_e64 v56, v52, v54, s[48:49]                  // 000000009DD4: D1000038 00C26D34
	v_cmp_u_f32_e64 s[48:49], v255, v255                       // 000000009DDC: D0480030 0003FFFF
	v_add3_u32 v52, v255, v55, 1                               // 000000009DE4: D1FF0034 02066FFF
	v_cndmask_b32_e64 v57, v52, v54, s[48:49]                  // 000000009DEC: D1000039 00C26D34
	v_perm_b32 v239, v57, v56, s52                             // 000000009DF4: D1ED00EF 00D27139
	s_cmp_ge_u32 s80, 0x200                                    // 000000009DFC: BF09FF50 00000200
	s_cselect_b32 s59, 0x200, s59                              // 000000009E04: 853B3BFF 00000200
	s_setvskip s20, 0                                          // 000000009E0C: BF108014
	global_atomic_pk_add_bf16 v80, v64, s[8:9]                 // 000000009E10: DD488000 00084050
	s_setvskip 0, 0                                            // 000000009E18: BF108080
	s_setvskip s20, 0                                          // 000000009E1C: BF108014
	global_atomic_pk_add_bf16 v80, v65, s[8:9] offset:256      // 000000009E20: DD488100 00084150
	s_setvskip 0, 0                                            // 000000009E28: BF108080
	s_setvskip s20, 1                                          // 000000009E2C: BF108114
	global_atomic_pk_add_bf16 v82, v66, s[8:9]                 // 000000009E30: DD488000 00084252
	s_setvskip 0, 0                                            // 000000009E38: BF108080
	s_setvskip s20, 1                                          // 000000009E3C: BF108114
	global_atomic_pk_add_bf16 v82, v67, s[8:9] offset:256      // 000000009E40: DD488100 00084352
	s_setvskip 0, 0                                            // 000000009E48: BF108080
	s_setvskip s20, 2                                          // 000000009E4C: BF108214
	global_atomic_pk_add_bf16 v84, v68, s[8:9]                 // 000000009E50: DD488000 00084454
	s_setvskip 0, 0                                            // 000000009E58: BF108080
	s_setvskip s20, 2                                          // 000000009E5C: BF108214
	global_atomic_pk_add_bf16 v84, v69, s[8:9] offset:256      // 000000009E60: DD488100 00084554
	s_setvskip 0, 0                                            // 000000009E68: BF108080
	s_setvskip s20, 3                                          // 000000009E6C: BF108314
	global_atomic_pk_add_bf16 v86, v70, s[8:9]                 // 000000009E70: DD488000 00084656
	s_setvskip 0, 0                                            // 000000009E78: BF108080
	s_setvskip s20, 3                                          // 000000009E7C: BF108314
	global_atomic_pk_add_bf16 v86, v71, s[8:9] offset:256      // 000000009E80: DD488100 00084756
	s_setvskip 0, 0                                            // 000000009E88: BF108080
	s_setvskip s20, 4                                          // 000000009E8C: BF108414
	global_atomic_pk_add_bf16 v88, v72, s[8:9]                 // 000000009E90: DD488000 00084858
	s_setvskip 0, 0                                            // 000000009E98: BF108080
	s_setvskip s20, 4                                          // 000000009E9C: BF108414
	global_atomic_pk_add_bf16 v88, v73, s[8:9] offset:256      // 000000009EA0: DD488100 00084958
	s_setvskip 0, 0                                            // 000000009EA8: BF108080
	s_setvskip s20, 5                                          // 000000009EAC: BF108514
	global_atomic_pk_add_bf16 v90, v74, s[8:9]                 // 000000009EB0: DD488000 00084A5A
	s_setvskip 0, 0                                            // 000000009EB8: BF108080
	s_setvskip s20, 5                                          // 000000009EBC: BF108514
	global_atomic_pk_add_bf16 v90, v75, s[8:9] offset:256      // 000000009EC0: DD488100 00084B5A
	s_setvskip 0, 0                                            // 000000009EC8: BF108080
	s_setvskip s20, 6                                          // 000000009ECC: BF108614
	global_atomic_pk_add_bf16 v92, v76, s[8:9]                 // 000000009ED0: DD488000 00084C5C
	s_setvskip 0, 0                                            // 000000009ED8: BF108080
	s_setvskip s20, 6                                          // 000000009EDC: BF108614
	global_atomic_pk_add_bf16 v92, v77, s[8:9] offset:256      // 000000009EE0: DD488100 00084D5C
	s_setvskip 0, 0                                            // 000000009EE8: BF108080
	s_setvskip s20, 7                                          // 000000009EEC: BF108714
	global_atomic_pk_add_bf16 v94, v78, s[8:9]                 // 000000009EF0: DD488000 00084E5E
	s_setvskip 0, 0                                            // 000000009EF8: BF108080
	s_setvskip s20, 7                                          // 000000009EFC: BF108714
	global_atomic_pk_add_bf16 v94, v79, s[8:9] offset:256      // 000000009F00: DD488100 00084F5E
	s_setvskip 0, 0                                            // 000000009F08: BF108080
	s_add_u32 s8, s59, s8                                      // 000000009F0C: 8008083B
	s_addc_u32 s9, 0, s9                                       // 000000009F10: 82090980
	s_addk_i32 s80, 0x100                                      // 000000009F14: B7500100
	s_cmp_lt_i32 s80, s81                                      // 000000009F18: BF045150
	s_cbranch_scc0 label_0F9B                                  // 000000009F1C: BF84F353
	s_branch label_1730                                        // 000000009F20: BF82FAE7

0000000000009f24 <label_1C49>:
	s_cmp_ge_u32 s59, 0                                        // 000000009F24: BF09803B
	s_cselect_b32 s59, 0x200, s59                              // 000000009F28: 853B3BFF 00000200
	s_waitcnt lgkmcnt(0)                                       // 000000009F30: BF8CC07F
	s_barrier                                                  // 000000009F34: BF8A0000
	s_cmp_eq_u32 s64, 0x100                                    // 000000009F38: BF06FF40 00000100
	s_cbranch_scc0 label_1CC5                                  // 000000009F40: BF840074
	ds_write_b64 v4, v[192:193] offset:20736                   // 000000009F44: D89A5100 0000C004
	ds_write_b64 v4, v[194:195] offset:29440                   // 000000009F4C: D89A7300 0000C204
	ds_write_b64 v4, v[196:197] offset:22912                   // 000000009F54: D89A5980 0000C404
	ds_write_b64 v4, v[198:199] offset:31616                   // 000000009F5C: D89A7B80 0000C604
	ds_write_b64 v4, v[200:201] offset:25088                   // 000000009F64: D89A6200 0000C804
	ds_write_b64 v4, v[202:203] offset:33792                   // 000000009F6C: D89A8400 0000CA04
	ds_write_b64 v4, v[204:205] offset:27264                   // 000000009F74: D89A6A80 0000CC04
	ds_write_b64 v4, v[206:207] offset:35968                   // 000000009F7C: D89A8C80 0000CE04
	s_waitcnt lgkmcnt(0)                                       // 000000009F84: BF8CC07F
	s_barrier                                                  // 000000009F88: BF8A0000
	ds_read_b32 v64, v5 offset:20736                           // 000000009F8C: D86C5100 40000005
	ds_read_b32 v65, v5 offset:25088                           // 000000009F94: D86C6200 41000005
	ds_read_b32 v66, v5 offset:20768                           // 000000009F9C: D86C5120 42000005
	ds_read_b32 v67, v5 offset:25120                           // 000000009FA4: D86C6220 43000005
	ds_read_b32 v68, v5 offset:20800                           // 000000009FAC: D86C5140 44000005
	ds_read_b32 v69, v5 offset:25152                           // 000000009FB4: D86C6240 45000005
	ds_read_b32 v70, v5 offset:20832                           // 000000009FBC: D86C5160 46000005
	ds_read_b32 v71, v5 offset:25184                           // 000000009FC4: D86C6260 47000005
	ds_read_b32 v72, v5 offset:29440                           // 000000009FCC: D86C7300 48000005
	ds_read_b32 v73, v5 offset:33792                           // 000000009FD4: D86C8400 49000005
	ds_read_b32 v74, v5 offset:29472                           // 000000009FDC: D86C7320 4A000005
	ds_read_b32 v75, v5 offset:33824                           // 000000009FE4: D86C8420 4B000005
	ds_read_b32 v76, v5 offset:29504                           // 000000009FEC: D86C7340 4C000005
	ds_read_b32 v77, v5 offset:33856                           // 000000009FF4: D86C8440 4D000005
	ds_read_b32 v78, v5 offset:29536                           // 000000009FFC: D86C7360 4E000005
	ds_read_b32 v79, v5 offset:33888                           // 00000000A004: D86C8460 4F000005
	s_waitcnt lgkmcnt(0)                                       // 00000000A00C: BF8CC07F
	s_setvskip s20, 0                                          // 00000000A010: BF108014
	global_atomic_pk_add_bf16 v80, v64, s[8:9]                 // 00000000A014: DD488000 00084050
	s_setvskip 0, 0                                            // 00000000A01C: BF108080
	s_setvskip s20, 0                                          // 00000000A020: BF108014
	global_atomic_pk_add_bf16 v80, v65, s[8:9] offset:256      // 00000000A024: DD488100 00084150
	s_setvskip 0, 0                                            // 00000000A02C: BF108080
	s_setvskip s20, 1                                          // 00000000A030: BF108114
	global_atomic_pk_add_bf16 v82, v66, s[8:9]                 // 00000000A034: DD488000 00084252
	s_setvskip 0, 0                                            // 00000000A03C: BF108080
	s_setvskip s20, 1                                          // 00000000A040: BF108114
	global_atomic_pk_add_bf16 v82, v67, s[8:9] offset:256      // 00000000A044: DD488100 00084352
	s_setvskip 0, 0                                            // 00000000A04C: BF108080
	s_setvskip s20, 2                                          // 00000000A050: BF108214
	global_atomic_pk_add_bf16 v84, v68, s[8:9]                 // 00000000A054: DD488000 00084454
	s_setvskip 0, 0                                            // 00000000A05C: BF108080
	s_setvskip s20, 2                                          // 00000000A060: BF108214
	global_atomic_pk_add_bf16 v84, v69, s[8:9] offset:256      // 00000000A064: DD488100 00084554
	s_setvskip 0, 0                                            // 00000000A06C: BF108080
	s_setvskip s20, 3                                          // 00000000A070: BF108314
	global_atomic_pk_add_bf16 v86, v70, s[8:9]                 // 00000000A074: DD488000 00084656
	s_setvskip 0, 0                                            // 00000000A07C: BF108080
	s_setvskip s20, 3                                          // 00000000A080: BF108314
	global_atomic_pk_add_bf16 v86, v71, s[8:9] offset:256      // 00000000A084: DD488100 00084756
	s_setvskip 0, 0                                            // 00000000A08C: BF108080
	s_setvskip s20, 4                                          // 00000000A090: BF108414
	global_atomic_pk_add_bf16 v88, v72, s[8:9]                 // 00000000A094: DD488000 00084858
	s_setvskip 0, 0                                            // 00000000A09C: BF108080
	s_setvskip s20, 4                                          // 00000000A0A0: BF108414
	global_atomic_pk_add_bf16 v88, v73, s[8:9] offset:256      // 00000000A0A4: DD488100 00084958
	s_setvskip 0, 0                                            // 00000000A0AC: BF108080
	s_setvskip s20, 5                                          // 00000000A0B0: BF108514
	global_atomic_pk_add_bf16 v90, v74, s[8:9]                 // 00000000A0B4: DD488000 00084A5A
	s_setvskip 0, 0                                            // 00000000A0BC: BF108080
	s_setvskip s20, 5                                          // 00000000A0C0: BF108514
	global_atomic_pk_add_bf16 v90, v75, s[8:9] offset:256      // 00000000A0C4: DD488100 00084B5A
	s_setvskip 0, 0                                            // 00000000A0CC: BF108080
	s_setvskip s20, 6                                          // 00000000A0D0: BF108614
	global_atomic_pk_add_bf16 v92, v76, s[8:9]                 // 00000000A0D4: DD488000 00084C5C
	s_setvskip 0, 0                                            // 00000000A0DC: BF108080
	s_setvskip s20, 6                                          // 00000000A0E0: BF108614
	global_atomic_pk_add_bf16 v92, v77, s[8:9] offset:256      // 00000000A0E4: DD488100 00084D5C
	s_setvskip 0, 0                                            // 00000000A0EC: BF108080
	s_setvskip s20, 7                                          // 00000000A0F0: BF108714
	global_atomic_pk_add_bf16 v94, v78, s[8:9]                 // 00000000A0F4: DD488000 00084E5E
	s_setvskip 0, 0                                            // 00000000A0FC: BF108080
	s_setvskip s20, 7                                          // 00000000A100: BF108714
	global_atomic_pk_add_bf16 v94, v79, s[8:9] offset:256      // 00000000A104: DD488100 00084F5E
	s_setvskip 0, 0                                            // 00000000A10C: BF108080
	s_branch label_1D9B                                        // 00000000A110: BF8200D6

000000000000a114 <label_1CC5>:
	ds_read_b32 v64, v5 offset:20736                           // 00000000A114: D86C5100 40000005
	ds_read_b32 v65, v5 offset:25088                           // 00000000A11C: D86C6200 41000005
	ds_read_b32 v66, v5 offset:20768                           // 00000000A124: D86C5120 42000005
	ds_read_b32 v67, v5 offset:25120                           // 00000000A12C: D86C6220 43000005
	ds_read_b32 v68, v5 offset:20800                           // 00000000A134: D86C5140 44000005
	ds_read_b32 v69, v5 offset:25152                           // 00000000A13C: D86C6240 45000005
	ds_read_b32 v70, v5 offset:20832                           // 00000000A144: D86C5160 46000005
	ds_read_b32 v71, v5 offset:25184                           // 00000000A14C: D86C6260 47000005
	ds_read_b32 v72, v5 offset:29440                           // 00000000A154: D86C7300 48000005
	ds_read_b32 v73, v5 offset:33792                           // 00000000A15C: D86C8400 49000005
	ds_read_b32 v74, v5 offset:29472                           // 00000000A164: D86C7320 4A000005
	ds_read_b32 v75, v5 offset:33824                           // 00000000A16C: D86C8420 4B000005
	ds_read_b32 v76, v5 offset:29504                           // 00000000A174: D86C7340 4C000005
	ds_read_b32 v77, v5 offset:33856                           // 00000000A17C: D86C8440 4D000005
	ds_read_b32 v78, v5 offset:29536                           // 00000000A184: D86C7360 4E000005
	ds_read_b32 v79, v5 offset:33888                           // 00000000A18C: D86C8460 4F000005
	s_waitcnt lgkmcnt(0)                                       // 00000000A194: BF8CC07F
	s_setvskip s20, 0                                          // 00000000A198: BF108014
	global_atomic_pk_add_bf16 v80, v64, s[8:9]                 // 00000000A19C: DD488000 00084050
	s_setvskip 0, 0                                            // 00000000A1A4: BF108080
	s_setvskip s20, 0                                          // 00000000A1A8: BF108014
	global_atomic_pk_add_bf16 v80, v65, s[8:9] offset:256      // 00000000A1AC: DD488100 00084150
	s_setvskip 0, 0                                            // 00000000A1B4: BF108080
	s_setvskip s20, 1                                          // 00000000A1B8: BF108114
	global_atomic_pk_add_bf16 v82, v66, s[8:9]                 // 00000000A1BC: DD488000 00084252
	s_setvskip 0, 0                                            // 00000000A1C4: BF108080
	s_setvskip s20, 1                                          // 00000000A1C8: BF108114
	global_atomic_pk_add_bf16 v82, v67, s[8:9] offset:256      // 00000000A1CC: DD488100 00084352
	s_setvskip 0, 0                                            // 00000000A1D4: BF108080
	s_setvskip s20, 2                                          // 00000000A1D8: BF108214
	global_atomic_pk_add_bf16 v84, v68, s[8:9]                 // 00000000A1DC: DD488000 00084454
	s_setvskip 0, 0                                            // 00000000A1E4: BF108080
	s_setvskip s20, 2                                          // 00000000A1E8: BF108214
	global_atomic_pk_add_bf16 v84, v69, s[8:9] offset:256      // 00000000A1EC: DD488100 00084554
	s_setvskip 0, 0                                            // 00000000A1F4: BF108080
	s_setvskip s20, 3                                          // 00000000A1F8: BF108314
	global_atomic_pk_add_bf16 v86, v70, s[8:9]                 // 00000000A1FC: DD488000 00084656
	s_setvskip 0, 0                                            // 00000000A204: BF108080
	s_setvskip s20, 3                                          // 00000000A208: BF108314
	global_atomic_pk_add_bf16 v86, v71, s[8:9] offset:256      // 00000000A20C: DD488100 00084756
	s_setvskip 0, 0                                            // 00000000A214: BF108080
	s_setvskip s20, 4                                          // 00000000A218: BF108414
	global_atomic_pk_add_bf16 v88, v72, s[8:9]                 // 00000000A21C: DD488000 00084858
	s_setvskip 0, 0                                            // 00000000A224: BF108080
	s_setvskip s20, 4                                          // 00000000A228: BF108414
	global_atomic_pk_add_bf16 v88, v73, s[8:9] offset:256      // 00000000A22C: DD488100 00084958
	s_setvskip 0, 0                                            // 00000000A234: BF108080
	s_setvskip s20, 5                                          // 00000000A238: BF108514
	global_atomic_pk_add_bf16 v90, v74, s[8:9]                 // 00000000A23C: DD488000 00084A5A
	s_setvskip 0, 0                                            // 00000000A244: BF108080
	s_setvskip s20, 5                                          // 00000000A248: BF108514
	global_atomic_pk_add_bf16 v90, v75, s[8:9] offset:256      // 00000000A24C: DD488100 00084B5A
	s_setvskip 0, 0                                            // 00000000A254: BF108080
	s_setvskip s20, 6                                          // 00000000A258: BF108614
	global_atomic_pk_add_bf16 v92, v76, s[8:9]                 // 00000000A25C: DD488000 00084C5C
	s_setvskip 0, 0                                            // 00000000A264: BF108080
	s_setvskip s20, 6                                          // 00000000A268: BF108614
	global_atomic_pk_add_bf16 v92, v77, s[8:9] offset:256      // 00000000A26C: DD488100 00084D5C
	s_setvskip 0, 0                                            // 00000000A274: BF108080
	s_setvskip s20, 7                                          // 00000000A278: BF108714
	global_atomic_pk_add_bf16 v94, v78, s[8:9]                 // 00000000A27C: DD488000 00084E5E
	s_setvskip 0, 0                                            // 00000000A284: BF108080
	s_setvskip s20, 7                                          // 00000000A288: BF108714
	global_atomic_pk_add_bf16 v94, v79, s[8:9] offset:256      // 00000000A28C: DD488100 00084F5E
	s_setvskip 0, 0                                            // 00000000A294: BF108080
	s_add_u32 s8, s59, s8                                      // 00000000A298: 8008083B
	s_addc_u32 s9, 0, s9                                       // 00000000A29C: 82090980
	ds_write_b64 v4, v[224:225] offset:38144                   // 00000000A2A0: D89A9500 0000E004
	ds_write_b64 v4, v[226:227] offset:46848                   // 00000000A2A8: D89AB700 0000E204
	ds_write_b64 v4, v[228:229] offset:40320                   // 00000000A2B0: D89A9D80 0000E404
	ds_write_b64 v4, v[230:231] offset:49024                   // 00000000A2B8: D89ABF80 0000E604
	ds_write_b64 v4, v[232:233] offset:42496                   // 00000000A2C0: D89AA600 0000E804
	ds_write_b64 v4, v[234:235] offset:51200                   // 00000000A2C8: D89AC800 0000EA04
	ds_write_b64 v4, v[236:237] offset:44672                   // 00000000A2D0: D89AAE80 0000EC04
	ds_write_b64 v4, v[238:239] offset:53376                   // 00000000A2D8: D89AD080 0000EE04
	s_waitcnt lgkmcnt(0)                                       // 00000000A2E0: BF8CC07F
	s_barrier                                                  // 00000000A2E4: BF8A0000
	ds_read_b32 v64, v5 offset:38144                           // 00000000A2E8: D86C9500 40000005
	ds_read_b32 v65, v5 offset:42496                           // 00000000A2F0: D86CA600 41000005
	ds_read_b32 v66, v5 offset:38176                           // 00000000A2F8: D86C9520 42000005
	ds_read_b32 v67, v5 offset:42528                           // 00000000A300: D86CA620 43000005
	ds_read_b32 v68, v5 offset:38208                           // 00000000A308: D86C9540 44000005
	ds_read_b32 v69, v5 offset:42560                           // 00000000A310: D86CA640 45000005
	ds_read_b32 v70, v5 offset:38240                           // 00000000A318: D86C9560 46000005
	ds_read_b32 v71, v5 offset:42592                           // 00000000A320: D86CA660 47000005
	ds_read_b32 v72, v5 offset:46848                           // 00000000A328: D86CB700 48000005
	ds_read_b32 v73, v5 offset:51200                           // 00000000A330: D86CC800 49000005
	ds_read_b32 v74, v5 offset:46880                           // 00000000A338: D86CB720 4A000005
	ds_read_b32 v75, v5 offset:51232                           // 00000000A340: D86CC820 4B000005
	ds_read_b32 v76, v5 offset:46912                           // 00000000A348: D86CB740 4C000005
	ds_read_b32 v77, v5 offset:51264                           // 00000000A350: D86CC840 4D000005
	ds_read_b32 v78, v5 offset:46944                           // 00000000A358: D86CB760 4E000005
	ds_read_b32 v79, v5 offset:51296                           // 00000000A360: D86CC860 4F000005
	s_waitcnt lgkmcnt(0)                                       // 00000000A368: BF8CC07F
	s_setvskip s20, 0                                          // 00000000A36C: BF108014
	global_atomic_pk_add_bf16 v80, v64, s[8:9]                 // 00000000A370: DD488000 00084050
	s_setvskip 0, 0                                            // 00000000A378: BF108080
	s_setvskip s20, 0                                          // 00000000A37C: BF108014
	global_atomic_pk_add_bf16 v80, v65, s[8:9] offset:256      // 00000000A380: DD488100 00084150
	s_setvskip 0, 0                                            // 00000000A388: BF108080
	s_setvskip s20, 1                                          // 00000000A38C: BF108114
	global_atomic_pk_add_bf16 v82, v66, s[8:9]                 // 00000000A390: DD488000 00084252
	s_setvskip 0, 0                                            // 00000000A398: BF108080
	s_setvskip s20, 1                                          // 00000000A39C: BF108114
	global_atomic_pk_add_bf16 v82, v67, s[8:9] offset:256      // 00000000A3A0: DD488100 00084352
	s_setvskip 0, 0                                            // 00000000A3A8: BF108080
	s_setvskip s20, 2                                          // 00000000A3AC: BF108214
	global_atomic_pk_add_bf16 v84, v68, s[8:9]                 // 00000000A3B0: DD488000 00084454
	s_setvskip 0, 0                                            // 00000000A3B8: BF108080
	s_setvskip s20, 2                                          // 00000000A3BC: BF108214
	global_atomic_pk_add_bf16 v84, v69, s[8:9] offset:256      // 00000000A3C0: DD488100 00084554
	s_setvskip 0, 0                                            // 00000000A3C8: BF108080
	s_setvskip s20, 3                                          // 00000000A3CC: BF108314
	global_atomic_pk_add_bf16 v86, v70, s[8:9]                 // 00000000A3D0: DD488000 00084656
	s_setvskip 0, 0                                            // 00000000A3D8: BF108080
	s_setvskip s20, 3                                          // 00000000A3DC: BF108314
	global_atomic_pk_add_bf16 v86, v71, s[8:9] offset:256      // 00000000A3E0: DD488100 00084756
	s_setvskip 0, 0                                            // 00000000A3E8: BF108080
	s_setvskip s20, 4                                          // 00000000A3EC: BF108414
	global_atomic_pk_add_bf16 v88, v72, s[8:9]                 // 00000000A3F0: DD488000 00084858
	s_setvskip 0, 0                                            // 00000000A3F8: BF108080
	s_setvskip s20, 4                                          // 00000000A3FC: BF108414
	global_atomic_pk_add_bf16 v88, v73, s[8:9] offset:256      // 00000000A400: DD488100 00084958
	s_setvskip 0, 0                                            // 00000000A408: BF108080
	s_setvskip s20, 5                                          // 00000000A40C: BF108514
	global_atomic_pk_add_bf16 v90, v74, s[8:9]                 // 00000000A410: DD488000 00084A5A
	s_setvskip 0, 0                                            // 00000000A418: BF108080
	s_setvskip s20, 5                                          // 00000000A41C: BF108514
	global_atomic_pk_add_bf16 v90, v75, s[8:9] offset:256      // 00000000A420: DD488100 00084B5A
	s_setvskip 0, 0                                            // 00000000A428: BF108080
	s_setvskip s20, 6                                          // 00000000A42C: BF108614
	global_atomic_pk_add_bf16 v92, v76, s[8:9]                 // 00000000A430: DD488000 00084C5C
	s_setvskip 0, 0                                            // 00000000A438: BF108080
	s_setvskip s20, 6                                          // 00000000A43C: BF108614
	global_atomic_pk_add_bf16 v92, v77, s[8:9] offset:256      // 00000000A440: DD488100 00084D5C
	s_setvskip 0, 0                                            // 00000000A448: BF108080
	s_setvskip s20, 7                                          // 00000000A44C: BF108714
	global_atomic_pk_add_bf16 v94, v78, s[8:9]                 // 00000000A450: DD488000 00084E5E
	s_setvskip 0, 0                                            // 00000000A458: BF108080
	s_setvskip s20, 7                                          // 00000000A45C: BF108714
	global_atomic_pk_add_bf16 v94, v79, s[8:9] offset:256      // 00000000A460: DD488100 00084F5E
	s_setvskip 0, 0                                            // 00000000A468: BF108080

000000000000a46c <label_1D9B>:
	s_waitcnt vmcnt(0) expcnt(0) lgkmcnt(0)                    // 00000000A46C: BF8C0000
	s_add_u32 s100, s100, 1                                    // 00000000A470: 80648164
	s_cmp_eq_u32 s96, 0                                        // 00000000A474: BF068060
	s_cbranch_scc0 label_0039                                  // 00000000A478: BF84E29A

000000000000a47c <label_1D9F>:
	s_waitcnt vmcnt(0) expcnt(0) lgkmcnt(0)                    // 00000000A47C: BF8C0000
	s_endpgm                                                   // 00000000A480: BF810000
